;; amdgpu-corpus repo=ROCm/rocFFT kind=compiled arch=gfx906 opt=O3
	.text
	.amdgcn_target "amdgcn-amd-amdhsa--gfx906"
	.amdhsa_code_object_version 6
	.protected	fft_rtc_back_len1352_factors_2_13_13_4_wgs_52_tpt_52_halfLds_half_ip_CI_unitstride_sbrr_R2C_dirReg ; -- Begin function fft_rtc_back_len1352_factors_2_13_13_4_wgs_52_tpt_52_halfLds_half_ip_CI_unitstride_sbrr_R2C_dirReg
	.globl	fft_rtc_back_len1352_factors_2_13_13_4_wgs_52_tpt_52_halfLds_half_ip_CI_unitstride_sbrr_R2C_dirReg
	.p2align	8
	.type	fft_rtc_back_len1352_factors_2_13_13_4_wgs_52_tpt_52_halfLds_half_ip_CI_unitstride_sbrr_R2C_dirReg,@function
fft_rtc_back_len1352_factors_2_13_13_4_wgs_52_tpt_52_halfLds_half_ip_CI_unitstride_sbrr_R2C_dirReg: ; @fft_rtc_back_len1352_factors_2_13_13_4_wgs_52_tpt_52_halfLds_half_ip_CI_unitstride_sbrr_R2C_dirReg
; %bb.0:
	s_load_dwordx2 s[12:13], s[4:5], 0x50
	s_load_dwordx4 s[8:11], s[4:5], 0x0
	s_load_dwordx2 s[2:3], s[4:5], 0x18
	v_mul_u32_u24_e32 v1, 0x4ed, v0
	v_add_u32_sdwa v5, s6, v1 dst_sel:DWORD dst_unused:UNUSED_PAD src0_sel:DWORD src1_sel:WORD_1
	v_mov_b32_e32 v3, 0
	s_waitcnt lgkmcnt(0)
	v_cmp_lt_u64_e64 s[0:1], s[10:11], 2
	v_mov_b32_e32 v1, 0
	v_mov_b32_e32 v6, v3
	s_and_b64 vcc, exec, s[0:1]
	v_mov_b32_e32 v2, 0
	s_cbranch_vccnz .LBB0_8
; %bb.1:
	s_load_dwordx2 s[0:1], s[4:5], 0x10
	s_add_u32 s6, s2, 8
	s_addc_u32 s7, s3, 0
	v_mov_b32_e32 v1, 0
	v_mov_b32_e32 v2, 0
	s_waitcnt lgkmcnt(0)
	s_add_u32 s14, s0, 8
	s_addc_u32 s15, s1, 0
	s_mov_b64 s[16:17], 1
.LBB0_2:                                ; =>This Inner Loop Header: Depth=1
	s_load_dwordx2 s[18:19], s[14:15], 0x0
                                        ; implicit-def: $vgpr7_vgpr8
	s_waitcnt lgkmcnt(0)
	v_or_b32_e32 v4, s19, v6
	v_cmp_ne_u64_e32 vcc, 0, v[3:4]
	s_and_saveexec_b64 s[0:1], vcc
	s_xor_b64 s[20:21], exec, s[0:1]
	s_cbranch_execz .LBB0_4
; %bb.3:                                ;   in Loop: Header=BB0_2 Depth=1
	v_cvt_f32_u32_e32 v4, s18
	v_cvt_f32_u32_e32 v7, s19
	s_sub_u32 s0, 0, s18
	s_subb_u32 s1, 0, s19
	v_mac_f32_e32 v4, 0x4f800000, v7
	v_rcp_f32_e32 v4, v4
	v_mul_f32_e32 v4, 0x5f7ffffc, v4
	v_mul_f32_e32 v7, 0x2f800000, v4
	v_trunc_f32_e32 v7, v7
	v_mac_f32_e32 v4, 0xcf800000, v7
	v_cvt_u32_f32_e32 v7, v7
	v_cvt_u32_f32_e32 v4, v4
	v_mul_lo_u32 v8, s0, v7
	v_mul_hi_u32 v9, s0, v4
	v_mul_lo_u32 v11, s1, v4
	v_mul_lo_u32 v10, s0, v4
	v_add_u32_e32 v8, v9, v8
	v_add_u32_e32 v8, v8, v11
	v_mul_hi_u32 v9, v4, v10
	v_mul_lo_u32 v11, v4, v8
	v_mul_hi_u32 v13, v4, v8
	v_mul_hi_u32 v12, v7, v10
	v_mul_lo_u32 v10, v7, v10
	v_mul_hi_u32 v14, v7, v8
	v_add_co_u32_e32 v9, vcc, v9, v11
	v_addc_co_u32_e32 v11, vcc, 0, v13, vcc
	v_mul_lo_u32 v8, v7, v8
	v_add_co_u32_e32 v9, vcc, v9, v10
	v_addc_co_u32_e32 v9, vcc, v11, v12, vcc
	v_addc_co_u32_e32 v10, vcc, 0, v14, vcc
	v_add_co_u32_e32 v8, vcc, v9, v8
	v_addc_co_u32_e32 v9, vcc, 0, v10, vcc
	v_add_co_u32_e32 v4, vcc, v4, v8
	v_addc_co_u32_e32 v7, vcc, v7, v9, vcc
	v_mul_lo_u32 v8, s0, v7
	v_mul_hi_u32 v9, s0, v4
	v_mul_lo_u32 v10, s1, v4
	v_mul_lo_u32 v11, s0, v4
	v_add_u32_e32 v8, v9, v8
	v_add_u32_e32 v8, v8, v10
	v_mul_lo_u32 v12, v4, v8
	v_mul_hi_u32 v13, v4, v11
	v_mul_hi_u32 v14, v4, v8
	;; [unrolled: 1-line block ×3, first 2 shown]
	v_mul_lo_u32 v11, v7, v11
	v_mul_hi_u32 v9, v7, v8
	v_add_co_u32_e32 v12, vcc, v13, v12
	v_addc_co_u32_e32 v13, vcc, 0, v14, vcc
	v_mul_lo_u32 v8, v7, v8
	v_add_co_u32_e32 v11, vcc, v12, v11
	v_addc_co_u32_e32 v10, vcc, v13, v10, vcc
	v_addc_co_u32_e32 v9, vcc, 0, v9, vcc
	v_add_co_u32_e32 v8, vcc, v10, v8
	v_addc_co_u32_e32 v9, vcc, 0, v9, vcc
	v_add_co_u32_e32 v4, vcc, v4, v8
	v_addc_co_u32_e32 v9, vcc, v7, v9, vcc
	v_mad_u64_u32 v[7:8], s[0:1], v5, v9, 0
	v_mul_hi_u32 v10, v5, v4
	v_add_co_u32_e32 v11, vcc, v10, v7
	v_addc_co_u32_e32 v12, vcc, 0, v8, vcc
	v_mad_u64_u32 v[7:8], s[0:1], v6, v4, 0
	v_mad_u64_u32 v[9:10], s[0:1], v6, v9, 0
	v_add_co_u32_e32 v4, vcc, v11, v7
	v_addc_co_u32_e32 v4, vcc, v12, v8, vcc
	v_addc_co_u32_e32 v7, vcc, 0, v10, vcc
	v_add_co_u32_e32 v4, vcc, v4, v9
	v_addc_co_u32_e32 v9, vcc, 0, v7, vcc
	v_mul_lo_u32 v10, s19, v4
	v_mul_lo_u32 v11, s18, v9
	v_mad_u64_u32 v[7:8], s[0:1], s18, v4, 0
	v_add3_u32 v8, v8, v11, v10
	v_sub_u32_e32 v10, v6, v8
	v_mov_b32_e32 v11, s19
	v_sub_co_u32_e32 v7, vcc, v5, v7
	v_subb_co_u32_e64 v10, s[0:1], v10, v11, vcc
	v_subrev_co_u32_e64 v11, s[0:1], s18, v7
	v_subbrev_co_u32_e64 v10, s[0:1], 0, v10, s[0:1]
	v_cmp_le_u32_e64 s[0:1], s19, v10
	v_cndmask_b32_e64 v12, 0, -1, s[0:1]
	v_cmp_le_u32_e64 s[0:1], s18, v11
	v_cndmask_b32_e64 v11, 0, -1, s[0:1]
	v_cmp_eq_u32_e64 s[0:1], s19, v10
	v_cndmask_b32_e64 v10, v12, v11, s[0:1]
	v_add_co_u32_e64 v11, s[0:1], 2, v4
	v_addc_co_u32_e64 v12, s[0:1], 0, v9, s[0:1]
	v_add_co_u32_e64 v13, s[0:1], 1, v4
	v_addc_co_u32_e64 v14, s[0:1], 0, v9, s[0:1]
	v_subb_co_u32_e32 v8, vcc, v6, v8, vcc
	v_cmp_ne_u32_e64 s[0:1], 0, v10
	v_cmp_le_u32_e32 vcc, s19, v8
	v_cndmask_b32_e64 v10, v14, v12, s[0:1]
	v_cndmask_b32_e64 v12, 0, -1, vcc
	v_cmp_le_u32_e32 vcc, s18, v7
	v_cndmask_b32_e64 v7, 0, -1, vcc
	v_cmp_eq_u32_e32 vcc, s19, v8
	v_cndmask_b32_e32 v7, v12, v7, vcc
	v_cmp_ne_u32_e32 vcc, 0, v7
	v_cndmask_b32_e64 v7, v13, v11, s[0:1]
	v_cndmask_b32_e32 v8, v9, v10, vcc
	v_cndmask_b32_e32 v7, v4, v7, vcc
.LBB0_4:                                ;   in Loop: Header=BB0_2 Depth=1
	s_andn2_saveexec_b64 s[0:1], s[20:21]
	s_cbranch_execz .LBB0_6
; %bb.5:                                ;   in Loop: Header=BB0_2 Depth=1
	v_cvt_f32_u32_e32 v4, s18
	s_sub_i32 s20, 0, s18
	v_rcp_iflag_f32_e32 v4, v4
	v_mul_f32_e32 v4, 0x4f7ffffe, v4
	v_cvt_u32_f32_e32 v4, v4
	v_mul_lo_u32 v7, s20, v4
	v_mul_hi_u32 v7, v4, v7
	v_add_u32_e32 v4, v4, v7
	v_mul_hi_u32 v4, v5, v4
	v_mul_lo_u32 v7, v4, s18
	v_add_u32_e32 v8, 1, v4
	v_sub_u32_e32 v7, v5, v7
	v_subrev_u32_e32 v9, s18, v7
	v_cmp_le_u32_e32 vcc, s18, v7
	v_cndmask_b32_e32 v7, v7, v9, vcc
	v_cndmask_b32_e32 v4, v4, v8, vcc
	v_add_u32_e32 v8, 1, v4
	v_cmp_le_u32_e32 vcc, s18, v7
	v_cndmask_b32_e32 v7, v4, v8, vcc
	v_mov_b32_e32 v8, v3
.LBB0_6:                                ;   in Loop: Header=BB0_2 Depth=1
	s_or_b64 exec, exec, s[0:1]
	v_mul_lo_u32 v4, v8, s18
	v_mul_lo_u32 v11, v7, s19
	v_mad_u64_u32 v[9:10], s[0:1], v7, s18, 0
	s_load_dwordx2 s[0:1], s[6:7], 0x0
	s_add_u32 s16, s16, 1
	v_add3_u32 v4, v10, v11, v4
	v_sub_co_u32_e32 v5, vcc, v5, v9
	v_subb_co_u32_e32 v4, vcc, v6, v4, vcc
	s_waitcnt lgkmcnt(0)
	v_mul_lo_u32 v4, s0, v4
	v_mul_lo_u32 v6, s1, v5
	v_mad_u64_u32 v[1:2], s[0:1], s0, v5, v[1:2]
	s_addc_u32 s17, s17, 0
	s_add_u32 s6, s6, 8
	v_add3_u32 v2, v6, v2, v4
	v_mov_b32_e32 v4, s10
	v_mov_b32_e32 v5, s11
	s_addc_u32 s7, s7, 0
	v_cmp_ge_u64_e32 vcc, s[16:17], v[4:5]
	s_add_u32 s14, s14, 8
	s_addc_u32 s15, s15, 0
	s_cbranch_vccnz .LBB0_9
; %bb.7:                                ;   in Loop: Header=BB0_2 Depth=1
	v_mov_b32_e32 v5, v7
	v_mov_b32_e32 v6, v8
	s_branch .LBB0_2
.LBB0_8:
	v_mov_b32_e32 v8, v6
	v_mov_b32_e32 v7, v5
.LBB0_9:
	s_lshl_b64 s[0:1], s[10:11], 3
	s_add_u32 s0, s2, s0
	s_addc_u32 s1, s3, s1
	s_load_dwordx2 s[2:3], s[0:1], 0x0
	s_load_dwordx2 s[6:7], s[4:5], 0x20
                                        ; implicit-def: $vgpr20
                                        ; implicit-def: $vgpr13
                                        ; implicit-def: $vgpr17
                                        ; implicit-def: $vgpr15
                                        ; implicit-def: $vgpr19
                                        ; implicit-def: $vgpr12
                                        ; implicit-def: $vgpr11
                                        ; implicit-def: $vgpr10
	s_waitcnt lgkmcnt(0)
	v_mad_u64_u32 v[1:2], s[0:1], s2, v7, v[1:2]
	s_mov_b32 s0, 0x4ec4ec5
	v_mul_lo_u32 v3, s2, v8
	v_mul_lo_u32 v4, s3, v7
	v_mul_hi_u32 v5, v0, s0
	v_cmp_gt_u64_e64 s[0:1], s[6:7], v[7:8]
	v_cmp_le_u64_e32 vcc, s[6:7], v[7:8]
	v_add3_u32 v2, v4, v2, v3
	v_mul_u32_u24_e32 v3, 52, v5
	v_sub_u32_e32 v4, v0, v3
	v_add_u32_e32 v8, 52, v4
	s_and_saveexec_b64 s[2:3], vcc
	s_xor_b64 s[2:3], exec, s[2:3]
; %bb.10:
	v_add_u32_e32 v8, 52, v4
	v_add_u32_e32 v20, 0x68, v4
	;; [unrolled: 1-line block ×9, first 2 shown]
; %bb.11:
	s_or_saveexec_b64 s[2:3], s[2:3]
	v_lshlrev_b64 v[6:7], 2, v[1:2]
	s_xor_b64 exec, exec, s[2:3]
	s_cbranch_execz .LBB0_13
; %bb.12:
	v_mov_b32_e32 v5, 0
	v_mov_b32_e32 v0, s13
	v_add_co_u32_e32 v2, vcc, s12, v6
	v_addc_co_u32_e32 v3, vcc, v0, v7, vcc
	v_lshlrev_b64 v[0:1], 2, v[4:5]
	s_movk_i32 s4, 0x1000
	v_add_co_u32_e32 v0, vcc, v2, v0
	v_addc_co_u32_e32 v1, vcc, v3, v1, vcc
	v_add_co_u32_e32 v2, vcc, s4, v0
	global_load_dword v5, v[0:1], off
	global_load_dword v9, v[0:1], off offset:208
	global_load_dword v10, v[0:1], off offset:416
	;; [unrolled: 1-line block ×15, first 2 shown]
	v_addc_co_u32_e32 v3, vcc, 0, v1, vcc
	global_load_dword v31, v[0:1], off offset:3328
	global_load_dword v32, v[0:1], off offset:3536
	global_load_dword v33, v[0:1], off offset:3744
	global_load_dword v34, v[0:1], off offset:3952
	global_load_dword v35, v[2:3], off offset:64
	global_load_dword v36, v[2:3], off offset:272
	global_load_dword v37, v[2:3], off offset:480
	global_load_dword v38, v[2:3], off offset:688
	global_load_dword v39, v[2:3], off offset:896
	global_load_dword v40, v[2:3], off offset:1104
	v_lshl_add_u32 v0, v4, 2, 0
	v_add_u32_e32 v20, 0x68, v4
	v_add_u32_e32 v13, 0x9c, v4
	;; [unrolled: 1-line block ×14, first 2 shown]
	s_waitcnt vmcnt(24)
	ds_write2_b32 v0, v5, v9 offset1:52
	s_waitcnt vmcnt(22)
	ds_write2_b32 v0, v10, v14 offset0:104 offset1:156
	s_waitcnt vmcnt(20)
	ds_write2_b32 v1, v16, v18 offset0:80 offset1:132
	;; [unrolled: 2-line block ×12, first 2 shown]
	v_add_u32_e32 v10, 0x270, v4
.LBB0_13:
	s_or_b64 exec, exec, s[2:3]
	v_lshlrev_b32_e32 v5, 2, v4
	v_add_u32_e32 v37, 0, v5
	v_add_u32_e32 v44, 0x800, v37
	;; [unrolled: 1-line block ×3, first 2 shown]
	s_waitcnt lgkmcnt(0)
	; wave barrier
	s_waitcnt lgkmcnt(0)
	ds_read2_b32 v[0:1], v44 offset0:112 offset1:164
	ds_read2_b32 v[2:3], v2 offset0:96 offset1:148
	ds_read2_b32 v[21:22], v37 offset1:52
	v_add_u32_e32 v25, 0x400, v37
	v_add_u32_e32 v45, 0x1000, v37
	v_add_u32_e32 v46, 0xc00, v37
	s_waitcnt lgkmcnt(1)
	v_pk_add_f16 v41, v0, v3 neg_lo:[0,1] neg_hi:[0,1]
	v_pk_fma_f16 v42, v0, 2.0, v41 op_sel_hi:[1,0,1] neg_lo:[0,0,1] neg_hi:[0,0,1]
	s_waitcnt lgkmcnt(0)
	v_pk_add_f16 v47, v21, v1 neg_lo:[0,1] neg_hi:[0,1]
	ds_read2_b32 v[0:1], v25 offset0:56 offset1:108
	ds_read2_b32 v[23:24], v45 offset0:16 offset1:68
	;; [unrolled: 1-line block ×5, first 2 shown]
	v_add_u32_e32 v3, 0x200, v37
	v_add_u32_e32 v16, v37, v5
	s_waitcnt lgkmcnt(3)
	v_pk_add_f16 v48, v1, v23 neg_lo:[0,1] neg_hi:[0,1]
	v_pk_fma_f16 v49, v1, 2.0, v48 op_sel_hi:[1,0,1] neg_lo:[0,0,1] neg_hi:[0,0,1]
	s_waitcnt lgkmcnt(1)
	v_pk_add_f16 v50, v27, v28 neg_lo:[0,1] neg_hi:[0,1]
	s_waitcnt lgkmcnt(0)
	v_pk_add_f16 v52, v31, v2 neg_lo:[0,1] neg_hi:[0,1]
	ds_read2_b32 v[1:2], v46 offset0:168 offset1:220
	v_pk_fma_f16 v51, v27, 2.0, v50 op_sel_hi:[1,0,1] neg_lo:[0,0,1] neg_hi:[0,0,1]
	ds_read2_b32 v[27:28], v3 offset0:80 offset1:132
	v_add_u32_e32 v23, 0xa00, v37
	v_pk_add_f16 v53, v26, v24 neg_lo:[0,1] neg_hi:[0,1]
	s_waitcnt lgkmcnt(1)
	v_pk_add_f16 v54, v0, v2 neg_lo:[0,1] neg_hi:[0,1]
	ds_read2_b32 v[2:3], v37 offset0:104 offset1:156
	ds_read2_b32 v[23:24], v23 offset0:88 offset1:140
	v_pk_fma_f16 v55, v0, 2.0, v54 op_sel_hi:[1,0,1] neg_lo:[0,0,1] neg_hi:[0,0,1]
	s_waitcnt lgkmcnt(2)
	v_pk_add_f16 v56, v28, v1 neg_lo:[0,1] neg_hi:[0,1]
	ds_read2_b32 v[0:1], v46 offset0:64 offset1:116
	v_pk_fma_f16 v21, v21, 2.0, v47 op_sel_hi:[1,0,1] neg_lo:[0,0,1] neg_hi:[0,0,1]
	s_waitcnt lgkmcnt(1)
	v_pk_add_f16 v24, v2, v24 neg_lo:[0,1] neg_hi:[0,1]
	v_pk_add_f16 v29, v30, v29 neg_lo:[0,1] neg_hi:[0,1]
	v_pk_fma_f16 v2, v2, 2.0, v24 op_sel_hi:[1,0,1] neg_lo:[0,0,1] neg_hi:[0,0,1]
	s_waitcnt lgkmcnt(0)
	v_pk_add_f16 v1, v27, v1 neg_lo:[0,1] neg_hi:[0,1]
	v_pk_add_f16 v0, v3, v0 neg_lo:[0,1] neg_hi:[0,1]
	;; [unrolled: 1-line block ×3, first 2 shown]
	v_lshl_add_u32 v18, v8, 3, 0
	v_lshl_add_u32 v14, v20, 3, 0
	;; [unrolled: 1-line block ×6, first 2 shown]
	v_add_u32_e32 v34, 0xb60, v16
	v_lshl_add_u32 v40, v12, 3, 0
	v_add_u32_e32 v35, 0xea0, v16
	v_lshl_add_u32 v39, v11, 3, 0
	;; [unrolled: 2-line block ×3, first 2 shown]
	v_pk_fma_f16 v31, v31, 2.0, v52 op_sel_hi:[1,0,1] neg_lo:[0,0,1] neg_hi:[0,0,1]
	v_pk_fma_f16 v30, v30, 2.0, v29 op_sel_hi:[1,0,1] neg_lo:[0,0,1] neg_hi:[0,0,1]
	;; [unrolled: 1-line block ×7, first 2 shown]
	s_waitcnt lgkmcnt(0)
	; wave barrier
	ds_write2_b32 v16, v21, v47 offset1:1
	ds_write2_b32 v18, v22, v23 offset1:1
	;; [unrolled: 1-line block ×13, first 2 shown]
	v_and_b32_e32 v2, 1, v4
	v_mul_u32_u24_e32 v0, 12, v2
	v_lshlrev_b32_e32 v3, 2, v0
	s_waitcnt lgkmcnt(0)
	; wave barrier
	s_waitcnt lgkmcnt(0)
	global_load_dwordx4 v[32:35], v3, s[8:9]
	global_load_dwordx4 v[87:90], v3, s[8:9] offset:16
	global_load_dwordx4 v[91:94], v3, s[8:9] offset:32
	v_lshlrev_b32_e32 v47, 2, v20
	v_lshlrev_b32_e32 v48, 2, v17
	v_sub_u32_e32 v50, v14, v47
	v_sub_u32_e32 v51, v9, v48
	v_lshlrev_b32_e32 v49, 2, v19
	v_lshlrev_b32_e32 v16, 2, v12
	;; [unrolled: 1-line block ×4, first 2 shown]
	v_add_u32_e32 v26, 0xe00, v37
	v_add_u32_e32 v27, 0x600, v37
	ds_read2_b32 v[0:1], v37 offset1:156
	v_sub_u32_e32 v28, v43, v49
	v_sub_u32_e32 v29, v40, v16
	;; [unrolled: 1-line block ×4, first 2 shown]
	ds_read_b32 v3, v51
	ds_read_b32 v21, v28
	;; [unrolled: 1-line block ×5, first 2 shown]
	ds_read2_b32 v[52:53], v44 offset0:164 offset1:216
	ds_read2_b32 v[59:60], v46 offset0:12 offset1:64
	;; [unrolled: 1-line block ×8, first 2 shown]
	v_lshl_add_u32 v41, v8, 2, 0
	ds_read_b32 v67, v50
	ds_read_b32 v56, v41
	ds_read_b32 v109, v37 offset:5200
	s_waitcnt lgkmcnt(14)
	v_lshrrev_b32_e32 v36, 16, v21
	s_waitcnt lgkmcnt(13)
	v_lshrrev_b32_e32 v57, 16, v22
	s_waitcnt lgkmcnt(2)
	v_lshrrev_b32_e32 v70, 16, v67
	v_lshrrev_b32_e32 v58, 16, v23
	v_lshrrev_b32_e32 v61, 16, v24
	;; [unrolled: 1-line block ×19, first 2 shown]
	s_waitcnt lgkmcnt(0)
	v_lshrrev_b32_e32 v114, 16, v109
	s_mov_b32 s4, 0xb770
	s_movk_i32 s5, 0x3b15
	s_movk_i32 s7, 0x3770
	s_mov_b32 s6, 0xba95
	s_movk_i32 s11, 0x388b
	s_movk_i32 s14, 0x3a95
	;; [unrolled: 3-line block ×3, first 2 shown]
	s_mov_b32 s17, 0xbb7b
	s_mov_b32 s18, 0xb5ac
	s_movk_i32 s19, 0x3b7b
	s_mov_b32 s20, 0xb94e
	s_mov_b32 s21, 0xb9fd
	s_movk_i32 s22, 0x394e
	s_mov_b32 s23, 0xb3a8
	s_mov_b32 s24, 0xbbc4
	s_movk_i32 s25, 0x33a8
	s_waitcnt lgkmcnt(0)
	; wave barrier
	v_cmp_gt_u32_e32 vcc, 26, v4
	s_waitcnt vmcnt(2)
	v_mul_f16_sdwa v71, v32, v70 dst_sel:DWORD dst_unused:UNUSED_PAD src0_sel:WORD_1 src1_sel:DWORD
	v_fma_f16 v115, v32, v67, v71
	v_mul_f16_sdwa v67, v32, v67 dst_sel:DWORD dst_unused:UNUSED_PAD src0_sel:WORD_1 src1_sel:DWORD
	v_fma_f16 v116, v32, v70, -v67
	v_lshrrev_b32_e32 v67, 16, v3
	v_mul_f16_sdwa v70, v33, v67 dst_sel:DWORD dst_unused:UNUSED_PAD src0_sel:WORD_1 src1_sel:DWORD
	v_fma_f16 v83, v33, v3, v70
	v_mul_f16_sdwa v3, v33, v3 dst_sel:DWORD dst_unused:UNUSED_PAD src0_sel:WORD_1 src1_sel:DWORD
	v_fma_f16 v84, v33, v67, -v3
	v_mul_f16_sdwa v3, v36, v34 dst_sel:DWORD dst_unused:UNUSED_PAD src0_sel:DWORD src1_sel:WORD_1
	v_fma_f16 v79, v21, v34, v3
	v_mul_f16_sdwa v3, v21, v34 dst_sel:DWORD dst_unused:UNUSED_PAD src0_sel:DWORD src1_sel:WORD_1
	v_fma_f16 v80, v36, v34, -v3
	v_mul_f16_sdwa v3, v57, v35 dst_sel:DWORD dst_unused:UNUSED_PAD src0_sel:DWORD src1_sel:WORD_1
	v_fma_f16 v75, v22, v35, v3
	v_mul_f16_sdwa v3, v22, v35 dst_sel:DWORD dst_unused:UNUSED_PAD src0_sel:DWORD src1_sel:WORD_1
	v_fma_f16 v76, v57, v35, -v3
	s_waitcnt vmcnt(1)
	v_mul_f16_sdwa v3, v58, v87 dst_sel:DWORD dst_unused:UNUSED_PAD src0_sel:DWORD src1_sel:WORD_1
	v_fma_f16 v70, v23, v87, v3
	v_mul_f16_sdwa v3, v23, v87 dst_sel:DWORD dst_unused:UNUSED_PAD src0_sel:DWORD src1_sel:WORD_1
	v_fma_f16 v71, v58, v87, -v3
	v_mul_f16_sdwa v3, v61, v88 dst_sel:DWORD dst_unused:UNUSED_PAD src0_sel:DWORD src1_sel:WORD_1
	v_fma_f16 v21, v24, v88, v3
	v_mul_f16_sdwa v3, v24, v88 dst_sel:DWORD dst_unused:UNUSED_PAD src0_sel:DWORD src1_sel:WORD_1
	v_fma_f16 v22, v61, v88, -v3
	;; [unrolled: 4-line block ×4, first 2 shown]
	s_waitcnt vmcnt(0)
	v_mul_f16_sdwa v3, v64, v91 dst_sel:DWORD dst_unused:UNUSED_PAD src0_sel:DWORD src1_sel:WORD_1
	v_fma_f16 v77, v66, v91, v3
	v_mul_f16_sdwa v3, v66, v91 dst_sel:DWORD dst_unused:UNUSED_PAD src0_sel:DWORD src1_sel:WORD_1
	v_fma_f16 v78, v64, v91, -v3
	v_mul_f16_sdwa v3, v74, v92 dst_sel:DWORD dst_unused:UNUSED_PAD src0_sel:DWORD src1_sel:WORD_1
	v_fma_f16 v81, v69, v92, v3
	v_mul_f16_sdwa v3, v69, v92 dst_sel:DWORD dst_unused:UNUSED_PAD src0_sel:DWORD src1_sel:WORD_1
	v_fma_f16 v82, v74, v92, -v3
	;; [unrolled: 4-line block ×16, first 2 shown]
	v_add_f16_e32 v1, v115, v0
	v_add_f16_sdwa v3, v116, v0 dst_sel:DWORD dst_unused:UNUSED_PAD src0_sel:DWORD src1_sel:WORD_1
	v_add_f16_e32 v1, v1, v83
	v_add_f16_e32 v3, v3, v84
	v_add_f16_e32 v1, v1, v79
	v_add_f16_e32 v3, v3, v80
	v_add_f16_e32 v1, v1, v75
	v_add_f16_e32 v3, v3, v76
	v_add_f16_e32 v1, v1, v70
	v_add_f16_e32 v3, v3, v71
	v_add_f16_e32 v1, v1, v21
	v_add_f16_e32 v3, v3, v22
	v_add_f16_e32 v1, v1, v23
	v_add_f16_e32 v3, v3, v67
	v_add_f16_e32 v1, v1, v72
	v_add_f16_e32 v3, v3, v73
	v_add_f16_e32 v1, v1, v77
	v_add_f16_e32 v3, v3, v78
	v_add_f16_e32 v1, v1, v81
	v_add_f16_e32 v3, v3, v82
	v_add_f16_e32 v1, v1, v85
	v_add_f16_e32 v3, v3, v86
	v_add_f16_e32 v88, v116, v98
	v_sub_f16_e32 v90, v116, v98
	v_add_f16_e32 v1, v1, v96
	v_add_f16_e32 v3, v3, v98
	;; [unrolled: 1-line block ×3, first 2 shown]
	v_sub_f16_e32 v89, v115, v96
	v_mul_f16_e32 v92, 0xb770, v90
	v_mul_f16_e32 v94, 0x3b15, v88
	;; [unrolled: 1-line block ×12, first 2 shown]
	v_fma_f16 v93, v87, s5, v92
	v_fma_f16 v95, v89, s7, v94
	v_fma_f16 v92, v87, s5, -v92
	v_fma_f16 v94, v89, s4, v94
	v_fma_f16 v97, v87, s11, v96
	v_fma_f16 v99, v89, s14, v98
	v_fma_f16 v96, v87, s11, -v96
	v_fma_f16 v98, v89, s6, v98
	;; [unrolled: 4-line block ×6, first 2 shown]
	v_add_f16_e32 v89, v84, v86
	v_sub_f16_e32 v84, v84, v86
	v_add_f16_e32 v93, v93, v0
	v_add_f16_sdwa v95, v95, v0 dst_sel:DWORD dst_unused:UNUSED_PAD src0_sel:DWORD src1_sel:WORD_1
	v_add_f16_e32 v92, v92, v0
	v_add_f16_sdwa v94, v94, v0 dst_sel:DWORD dst_unused:UNUSED_PAD src0_sel:DWORD src1_sel:WORD_1
	;; [unrolled: 2-line block ×12, first 2 shown]
	v_add_f16_e32 v88, v83, v85
	v_sub_f16_e32 v83, v83, v85
	v_mul_f16_e32 v85, 0xba95, v84
	v_fma_f16 v86, v88, s11, v85
	v_mul_f16_e32 v90, 0x388b, v89
	v_fma_f16 v85, v88, s11, -v85
	v_add_f16_e32 v86, v86, v93
	v_fma_f16 v93, v83, s14, v90
	v_add_f16_e32 v85, v85, v92
	v_fma_f16 v90, v83, s6, v90
	v_mul_f16_e32 v92, 0xbb7b, v84
	v_add_f16_e32 v93, v93, v95
	v_add_f16_e32 v90, v90, v94
	v_fma_f16 v94, v88, s18, v92
	v_mul_f16_e32 v95, 0xb5ac, v89
	v_fma_f16 v92, v88, s18, -v92
	v_add_f16_e32 v94, v94, v97
	v_fma_f16 v97, v83, s19, v95
	v_add_f16_e32 v92, v92, v96
	v_fma_f16 v95, v83, s17, v95
	v_mul_f16_e32 v96, 0xb3a8, v84
	v_add_f16_e32 v97, v97, v99
	v_add_f16_e32 v95, v95, v98
	;; [unrolled: 10-line block ×4, first 2 shown]
	v_fma_f16 v106, v88, s15, v104
	v_mul_f16_e32 v107, 0x2fb7, v89
	v_fma_f16 v104, v88, s15, -v104
	v_mul_f16_e32 v84, 0x3770, v84
	v_add_f16_e32 v106, v106, v109
	v_fma_f16 v109, v83, s10, v107
	v_add_f16_e32 v104, v104, v108
	v_fma_f16 v107, v83, s16, v107
	v_fma_f16 v108, v88, s5, v84
	v_mul_f16_e32 v89, 0x3b15, v89
	v_fma_f16 v84, v88, s5, -v84
	v_add_f16_e32 v107, v107, v110
	v_fma_f16 v110, v83, s4, v89
	v_add_f16_e32 v84, v84, v87
	v_fma_f16 v83, v83, s7, v89
	v_add_f16_e32 v87, v80, v82
	v_sub_f16_e32 v80, v80, v82
	v_add_f16_e32 v0, v83, v0
	v_add_f16_e32 v83, v79, v81
	v_sub_f16_e32 v79, v79, v81
	v_mul_f16_e32 v81, 0xbbf1, v80
	v_fma_f16 v82, v83, s15, v81
	v_add_f16_e32 v82, v82, v86
	v_mul_f16_e32 v86, 0x2fb7, v87
	v_fma_f16 v81, v83, s15, -v81
	v_fma_f16 v88, v79, s16, v86
	v_add_f16_e32 v81, v81, v85
	v_fma_f16 v85, v79, s10, v86
	v_mul_f16_e32 v86, 0xb3a8, v80
	v_add_f16_e32 v85, v85, v90
	v_fma_f16 v89, v83, s24, v86
	v_mul_f16_e32 v90, 0xbbc4, v87
	v_fma_f16 v86, v83, s24, -v86
	v_add_f16_e32 v88, v88, v93
	v_fma_f16 v93, v79, s25, v90
	v_add_f16_e32 v86, v86, v92
	v_fma_f16 v90, v79, s23, v90
	v_mul_f16_e32 v92, 0x3b7b, v80
	v_add_f16_e32 v89, v89, v94
	v_add_f16_e32 v90, v90, v95
	v_fma_f16 v94, v83, s18, v92
	v_mul_f16_e32 v95, 0xb5ac, v87
	v_fma_f16 v92, v83, s18, -v92
	v_add_f16_e32 v93, v93, v97
	v_fma_f16 v97, v79, s17, v95
	v_add_f16_e32 v92, v92, v96
	v_fma_f16 v95, v79, s19, v95
	v_mul_f16_e32 v96, 0x3770, v80
	v_add_f16_e32 v94, v94, v98
	;; [unrolled: 10-line block ×3, first 2 shown]
	v_add_f16_e32 v99, v99, v103
	v_fma_f16 v102, v83, s11, v100
	v_mul_f16_e32 v103, 0x388b, v87
	v_fma_f16 v100, v83, s11, -v100
	v_mul_f16_e32 v80, 0xb94e, v80
	v_mul_f16_e32 v87, 0xb9fd, v87
	v_add_f16_e32 v101, v101, v105
	v_add_f16_e32 v102, v102, v106
	v_fma_f16 v105, v79, s14, v103
	v_add_f16_e32 v100, v100, v104
	v_fma_f16 v103, v79, s6, v103
	v_fma_f16 v104, v83, s21, v80
	;; [unrolled: 1-line block ×3, first 2 shown]
	v_fma_f16 v80, v83, s21, -v80
	v_fma_f16 v79, v79, s20, v87
	v_add_f16_e32 v83, v76, v78
	v_sub_f16_e32 v76, v76, v78
	v_add_f16_e32 v0, v79, v0
	v_add_f16_e32 v79, v75, v77
	v_sub_f16_e32 v75, v75, v77
	v_mul_f16_e32 v77, 0xbb7b, v76
	v_fma_f16 v78, v79, s18, v77
	v_add_f16_e32 v78, v78, v82
	v_mul_f16_e32 v82, 0xb5ac, v83
	v_fma_f16 v77, v79, s18, -v77
	v_add_f16_e32 v80, v80, v84
	v_fma_f16 v84, v75, s19, v82
	v_add_f16_e32 v77, v77, v81
	v_fma_f16 v81, v75, s17, v82
	v_mul_f16_e32 v82, 0x394e, v76
	v_add_f16_e32 v81, v81, v85
	v_fma_f16 v85, v79, s21, v82
	v_mul_f16_e32 v87, 0xb9fd, v83
	v_fma_f16 v82, v79, s21, -v82
	v_add_f16_e32 v84, v84, v88
	v_fma_f16 v88, v75, s20, v87
	v_add_f16_e32 v82, v82, v86
	v_fma_f16 v86, v75, s22, v87
	v_mul_f16_e32 v87, 0x3770, v76
	v_add_f16_e32 v85, v85, v89
	v_add_f16_e32 v86, v86, v90
	v_fma_f16 v89, v79, s5, v87
	v_mul_f16_e32 v90, 0x3b15, v83
	v_fma_f16 v87, v79, s5, -v87
	v_add_f16_e32 v88, v88, v93
	v_fma_f16 v93, v75, s4, v90
	v_add_f16_e32 v87, v87, v92
	v_fma_f16 v90, v75, s7, v90
	v_mul_f16_e32 v92, 0xbbf1, v76
	v_add_f16_e32 v89, v89, v94
	;; [unrolled: 10-line block ×3, first 2 shown]
	v_add_f16_e32 v95, v95, v99
	v_fma_f16 v98, v79, s24, v96
	v_mul_f16_e32 v99, 0xbbc4, v83
	v_fma_f16 v96, v79, s24, -v96
	v_mul_f16_e32 v76, 0x3a95, v76
	v_mul_f16_e32 v83, 0x388b, v83
	v_add_f16_e32 v97, v97, v101
	v_add_f16_e32 v98, v98, v102
	v_fma_f16 v101, v75, s23, v99
	v_add_f16_e32 v96, v96, v100
	v_fma_f16 v99, v75, s25, v99
	v_fma_f16 v100, v79, s11, v76
	;; [unrolled: 1-line block ×3, first 2 shown]
	v_fma_f16 v76, v79, s11, -v76
	v_fma_f16 v75, v75, s14, v83
	v_add_f16_e32 v79, v71, v73
	v_sub_f16_e32 v71, v71, v73
	v_add_f16_e32 v0, v75, v0
	v_add_f16_e32 v75, v70, v72
	v_sub_f16_e32 v70, v70, v72
	v_mul_f16_e32 v72, 0xb94e, v71
	v_fma_f16 v73, v75, s21, v72
	v_add_f16_e32 v73, v73, v78
	v_mul_f16_e32 v78, 0xb9fd, v79
	v_fma_f16 v72, v75, s21, -v72
	v_add_f16_e32 v76, v76, v80
	v_fma_f16 v80, v70, s22, v78
	v_add_f16_e32 v72, v72, v77
	v_fma_f16 v77, v70, s20, v78
	v_mul_f16_e32 v78, 0x3bf1, v71
	v_add_f16_e32 v77, v77, v81
	v_fma_f16 v81, v75, s15, v78
	v_mul_f16_e32 v83, 0x2fb7, v79
	v_fma_f16 v78, v75, s15, -v78
	v_add_f16_e32 v80, v80, v84
	v_fma_f16 v84, v70, s10, v83
	v_add_f16_e32 v78, v78, v82
	v_fma_f16 v82, v70, s16, v83
	v_mul_f16_e32 v83, 0xba95, v71
	v_add_f16_e32 v81, v81, v85
	v_add_f16_e32 v82, v82, v86
	v_fma_f16 v85, v75, s11, v83
	v_mul_f16_e32 v86, 0x388b, v79
	v_fma_f16 v83, v75, s11, -v83
	v_add_f16_e32 v103, v103, v107
	v_add_f16_e32 v84, v84, v88
	v_fma_f16 v88, v70, s14, v86
	v_add_f16_e32 v83, v83, v87
	v_mul_f16_e32 v87, 0x33a8, v71
	v_add_f16_e32 v108, v108, v112
	v_add_f16_e32 v99, v99, v103
	;; [unrolled: 1-line block ×3, first 2 shown]
	v_fma_f16 v88, v75, s24, v87
	v_add_f16_e32 v104, v104, v108
	v_add_f16_e32 v94, v88, v94
	v_mul_f16_e32 v88, 0xbbc4, v79
	v_fma_f16 v87, v75, s24, -v87
	v_add_f16_e32 v100, v100, v104
	v_add_f16_e32 v104, v87, v92
	v_fma_f16 v87, v70, s25, v88
	v_add_f16_e32 v95, v87, v95
	v_mul_f16_e32 v87, 0x3770, v71
	v_add_f16_e32 v85, v85, v89
	v_fma_f16 v89, v70, s23, v88
	v_fma_f16 v88, v75, s5, v87
	v_add_f16_e32 v98, v88, v98
	v_mul_f16_e32 v88, 0x3b15, v79
	v_fma_f16 v87, v75, s5, -v87
	v_add_f16_e32 v96, v87, v96
	v_fma_f16 v87, v70, s7, v88
	v_mul_f16_e32 v71, 0xbb7b, v71
	v_add_f16_e32 v110, v110, v113
	v_add_f16_e32 v99, v87, v99
	v_fma_f16 v87, v75, s18, v71
	v_mul_f16_e32 v79, 0xb5ac, v79
	v_add_f16_e32 v106, v106, v110
	v_fma_f16 v86, v70, s6, v86
	v_add_f16_e32 v97, v89, v97
	v_fma_f16 v89, v70, s4, v88
	;; [unrolled: 2-line block ×3, first 2 shown]
	v_fma_f16 v70, v70, s17, v79
	v_add_f16_e32 v108, v22, v67
	v_sub_f16_e32 v22, v22, v67
	v_add_f16_e32 v102, v102, v106
	v_add_f16_e32 v106, v70, v0
	;; [unrolled: 1-line block ×3, first 2 shown]
	v_mul_f16_e32 v0, 0xb3a8, v22
	v_sub_f16_e32 v23, v21, v23
	v_fma_f16 v21, v107, s24, v0
	v_add_f16_e32 v92, v21, v73
	v_mul_f16_e32 v21, 0xbbc4, v108
	v_add_f16_e32 v109, v109, v111
	v_fma_f16 v67, v23, s25, v21
	v_add_f16_e32 v105, v105, v109
	v_fma_f16 v71, v75, s18, -v71
	v_add_f16_e32 v93, v67, v80
	v_mul_f16_e32 v67, 0x3770, v22
	v_add_f16_e32 v101, v101, v105
	v_add_f16_e32 v105, v71, v76
	v_fma_f16 v70, v107, s5, v67
	v_mul_f16_e32 v71, 0x3b15, v108
	v_add_f16_e32 v102, v87, v102
	v_add_f16_e32 v87, v70, v81
	v_fma_f16 v70, v23, s4, v71
	v_fma_f16 v67, v107, s5, -v67
	v_add_f16_e32 v88, v70, v84
	v_add_f16_e32 v70, v67, v78
	v_fma_f16 v67, v23, s7, v71
	v_fma_f16 v0, v107, s24, -v0
	v_add_f16_e32 v71, v67, v82
	v_mul_f16_e32 v67, 0xb94e, v22
	v_add_f16_e32 v0, v0, v72
	v_fma_f16 v72, v107, s21, v67
	v_mul_f16_e32 v73, 0xb9fd, v108
	v_add_f16_e32 v101, v89, v101
	v_add_f16_e32 v89, v72, v85
	v_fma_f16 v72, v23, s22, v73
	v_fma_f16 v67, v107, s21, -v67
	v_add_f16_e32 v86, v86, v90
	v_add_f16_e32 v90, v72, v103
	;; [unrolled: 1-line block ×3, first 2 shown]
	v_fma_f16 v67, v23, s20, v73
	v_add_f16_e32 v73, v67, v86
	v_mul_f16_e32 v67, 0x3a95, v22
	v_fma_f16 v75, v107, s11, v67
	v_mul_f16_e32 v76, 0x388b, v108
	v_add_f16_e32 v83, v75, v94
	v_fma_f16 v75, v23, s6, v76
	v_fma_f16 v67, v107, s11, -v67
	v_add_f16_e32 v84, v75, v97
	v_add_f16_e32 v75, v67, v104
	v_fma_f16 v67, v23, s14, v76
	v_fma_f16 v21, v23, s23, v21
	v_add_f16_e32 v76, v67, v95
	v_mul_f16_e32 v67, 0xbb7b, v22
	v_add_f16_e32 v21, v21, v77
	v_fma_f16 v77, v107, s18, v67
	v_mul_f16_e32 v78, 0xb5ac, v108
	v_add_f16_e32 v85, v77, v98
	v_fma_f16 v77, v23, s19, v78
	v_fma_f16 v67, v107, s18, -v67
	v_add_f16_e32 v86, v77, v101
	v_add_f16_e32 v77, v67, v96
	v_fma_f16 v67, v23, s17, v78
	v_mul_f16_e32 v22, 0x3bf1, v22
	v_add_f16_e32 v78, v67, v99
	v_fma_f16 v67, v107, s15, v22
	v_add_f16_e32 v79, v67, v100
	v_mul_f16_e32 v67, 0x2fb7, v108
	v_fma_f16 v22, v107, s15, -v22
	v_add_f16_e32 v81, v22, v105
	v_fma_f16 v22, v23, s16, v67
	v_add_f16_e32 v82, v22, v106
	v_add_f16_e32 v22, v63, v56
	v_fma_f16 v80, v23, s10, v67
	v_add_f16_sdwa v23, v64, v56 dst_sel:DWORD dst_unused:UNUSED_PAD src0_sel:DWORD src1_sel:WORD_1
	v_add_f16_e32 v22, v22, v61
	v_add_f16_e32 v23, v23, v62
	v_add_f16_e32 v22, v22, v57
	v_add_f16_e32 v23, v23, v58
	v_add_f16_e32 v22, v22, v54
	v_add_f16_e32 v23, v23, v55
	v_add_f16_e32 v22, v22, v35
	v_add_f16_e32 v23, v23, v36
	v_add_f16_e32 v22, v22, v24
	v_add_f16_e32 v23, v23, v32
	v_add_f16_e32 v22, v22, v33
	v_add_f16_e32 v23, v23, v34
	v_add_f16_e32 v22, v22, v52
	v_add_f16_e32 v23, v23, v53
	v_add_f16_e32 v22, v22, v59
	v_add_f16_e32 v23, v23, v60
	v_add_f16_e32 v22, v22, v65
	v_add_f16_e32 v23, v23, v66
	v_add_f16_e32 v22, v22, v68
	v_add_f16_e32 v94, v64, v91
	v_sub_f16_e32 v64, v64, v91
	v_add_f16_e32 v23, v23, v69
	v_add_f16_e32 v22, v22, v74
	;; [unrolled: 1-line block ×3, first 2 shown]
	v_sub_f16_e32 v63, v63, v74
	v_mul_f16_e32 v74, 0xb770, v64
	v_mul_f16_e32 v95, 0x3b15, v94
	;; [unrolled: 1-line block ×12, first 2 shown]
	v_add_f16_e32 v80, v80, v102
	v_add_f16_e32 v23, v23, v91
	v_fma_f16 v91, v67, s5, v74
	v_fma_f16 v96, v63, s7, v95
	v_fma_f16 v74, v67, s5, -v74
	v_fma_f16 v95, v63, s4, v95
	v_fma_f16 v98, v67, s11, v97
	v_fma_f16 v100, v63, s14, v99
	v_fma_f16 v97, v67, s11, -v97
	v_fma_f16 v99, v63, s6, v99
	;; [unrolled: 4-line block ×6, first 2 shown]
	v_add_f16_e32 v67, v62, v69
	v_sub_f16_e32 v62, v62, v69
	v_add_f16_e32 v91, v91, v56
	v_add_f16_sdwa v96, v96, v56 dst_sel:DWORD dst_unused:UNUSED_PAD src0_sel:DWORD src1_sel:WORD_1
	v_add_f16_e32 v74, v74, v56
	v_add_f16_sdwa v95, v95, v56 dst_sel:DWORD dst_unused:UNUSED_PAD src0_sel:DWORD src1_sel:WORD_1
	;; [unrolled: 2-line block ×12, first 2 shown]
	v_add_f16_e32 v63, v61, v68
	v_sub_f16_e32 v61, v61, v68
	v_mul_f16_e32 v68, 0xba95, v62
	v_fma_f16 v69, v63, s11, v68
	v_add_f16_e32 v69, v69, v91
	v_mul_f16_e32 v91, 0x388b, v67
	v_fma_f16 v68, v63, s11, -v68
	v_fma_f16 v94, v61, s14, v91
	v_add_f16_e32 v68, v68, v74
	v_fma_f16 v74, v61, s6, v91
	v_mul_f16_e32 v91, 0xbb7b, v62
	v_add_f16_e32 v94, v94, v96
	v_add_f16_e32 v74, v74, v95
	v_fma_f16 v95, v63, s18, v91
	v_mul_f16_e32 v96, 0xb5ac, v67
	v_fma_f16 v91, v63, s18, -v91
	v_add_f16_e32 v95, v95, v98
	v_fma_f16 v98, v61, s19, v96
	v_add_f16_e32 v91, v91, v97
	v_fma_f16 v96, v61, s17, v96
	v_mul_f16_e32 v97, 0xb3a8, v62
	v_add_f16_e32 v98, v98, v100
	v_add_f16_e32 v96, v96, v99
	v_fma_f16 v99, v63, s24, v97
	v_mul_f16_e32 v100, 0xbbc4, v67
	v_fma_f16 v97, v63, s24, -v97
	v_add_f16_e32 v99, v99, v102
	;; [unrolled: 10-line block ×3, first 2 shown]
	v_fma_f16 v106, v61, s20, v104
	v_add_f16_e32 v101, v101, v105
	v_fma_f16 v104, v61, s22, v104
	v_mul_f16_e32 v105, 0x3bf1, v62
	v_add_f16_e32 v106, v106, v108
	v_add_f16_e32 v104, v104, v107
	v_fma_f16 v107, v63, s15, v105
	v_mul_f16_e32 v108, 0x2fb7, v67
	v_add_f16_e32 v107, v107, v110
	v_fma_f16 v110, v61, s10, v108
	v_fma_f16 v105, v63, s15, -v105
	v_fma_f16 v108, v61, s16, v108
	v_mul_f16_e32 v62, 0x3770, v62
	v_mul_f16_e32 v67, 0x3b15, v67
	v_add_f16_e32 v105, v105, v109
	v_add_f16_e32 v108, v108, v111
	v_fma_f16 v109, v63, s5, v62
	v_fma_f16 v111, v61, s4, v67
	v_fma_f16 v62, v63, s5, -v62
	v_fma_f16 v61, v61, s7, v67
	v_add_f16_e32 v63, v58, v66
	v_sub_f16_e32 v58, v58, v66
	v_add_f16_e32 v62, v62, v64
	v_add_f16_e32 v56, v61, v56
	;; [unrolled: 1-line block ×3, first 2 shown]
	v_mul_f16_e32 v64, 0xbbf1, v58
	v_sub_f16_e32 v57, v57, v65
	v_fma_f16 v65, v61, s15, v64
	v_mul_f16_e32 v66, 0x2fb7, v63
	v_fma_f16 v64, v61, s15, -v64
	v_fma_f16 v67, v57, s16, v66
	v_add_f16_e32 v64, v64, v68
	v_fma_f16 v66, v57, s10, v66
	v_mul_f16_e32 v68, 0xb3a8, v58
	v_add_f16_e32 v65, v65, v69
	v_add_f16_e32 v66, v66, v74
	v_fma_f16 v69, v61, s24, v68
	v_mul_f16_e32 v74, 0xbbc4, v63
	v_fma_f16 v68, v61, s24, -v68
	v_add_f16_e32 v67, v67, v94
	v_fma_f16 v94, v57, s25, v74
	v_add_f16_e32 v68, v68, v91
	v_fma_f16 v74, v57, s23, v74
	v_mul_f16_e32 v91, 0x3b7b, v58
	v_add_f16_e32 v69, v69, v95
	v_add_f16_e32 v74, v74, v96
	v_fma_f16 v95, v61, s18, v91
	v_mul_f16_e32 v96, 0xb5ac, v63
	v_fma_f16 v91, v61, s18, -v91
	v_add_f16_e32 v94, v94, v98
	;; [unrolled: 10-line block ×3, first 2 shown]
	v_fma_f16 v102, v57, s4, v100
	v_add_f16_e32 v97, v97, v101
	v_fma_f16 v100, v57, s7, v100
	v_mul_f16_e32 v101, 0xba95, v58
	v_add_f16_e32 v99, v99, v103
	v_add_f16_e32 v100, v100, v104
	v_fma_f16 v103, v61, s11, v101
	v_mul_f16_e32 v104, 0x388b, v63
	v_fma_f16 v101, v61, s11, -v101
	v_mul_f16_e32 v58, 0xb94e, v58
	v_mul_f16_e32 v63, 0xb9fd, v63
	v_add_f16_e32 v102, v102, v106
	v_add_f16_e32 v103, v103, v107
	v_fma_f16 v106, v57, s14, v104
	v_add_f16_e32 v101, v101, v105
	v_fma_f16 v104, v57, s6, v104
	v_fma_f16 v105, v61, s21, v58
	;; [unrolled: 1-line block ×3, first 2 shown]
	v_fma_f16 v58, v61, s21, -v58
	v_fma_f16 v57, v57, s20, v63
	v_add_f16_e32 v61, v55, v60
	v_sub_f16_e32 v55, v55, v60
	v_add_f16_e32 v56, v57, v56
	v_add_f16_e32 v57, v54, v59
	v_sub_f16_e32 v54, v54, v59
	v_mul_f16_e32 v59, 0xbb7b, v55
	v_add_f16_e32 v58, v58, v62
	v_fma_f16 v60, v57, s18, v59
	v_mul_f16_e32 v62, 0xb5ac, v61
	v_fma_f16 v59, v57, s18, -v59
	v_fma_f16 v63, v54, s19, v62
	v_add_f16_e32 v59, v59, v64
	v_fma_f16 v62, v54, s17, v62
	v_mul_f16_e32 v64, 0x394e, v55
	v_add_f16_e32 v60, v60, v65
	v_add_f16_e32 v62, v62, v66
	v_fma_f16 v65, v57, s21, v64
	v_mul_f16_e32 v66, 0xb9fd, v61
	v_fma_f16 v64, v57, s21, -v64
	v_add_f16_e32 v63, v63, v67
	v_fma_f16 v67, v54, s20, v66
	v_add_f16_e32 v64, v64, v68
	v_fma_f16 v66, v54, s22, v66
	v_mul_f16_e32 v68, 0x3770, v55
	v_add_f16_e32 v65, v65, v69
	v_add_f16_e32 v66, v66, v74
	v_fma_f16 v69, v57, s5, v68
	v_mul_f16_e32 v74, 0x3b15, v61
	v_fma_f16 v68, v57, s5, -v68
	v_add_f16_e32 v67, v67, v94
	;; [unrolled: 10-line block ×3, first 2 shown]
	v_fma_f16 v98, v54, s16, v96
	v_add_f16_e32 v91, v91, v97
	v_fma_f16 v96, v54, s10, v96
	v_mul_f16_e32 v97, 0x33a8, v55
	v_add_f16_e32 v95, v95, v99
	v_add_f16_e32 v96, v96, v100
	v_fma_f16 v99, v57, s24, v97
	v_mul_f16_e32 v100, 0xbbc4, v61
	v_fma_f16 v97, v57, s24, -v97
	v_mul_f16_e32 v55, 0x3a95, v55
	v_mul_f16_e32 v61, 0x388b, v61
	v_add_f16_e32 v98, v98, v102
	v_add_f16_e32 v99, v99, v103
	v_fma_f16 v102, v54, s23, v100
	v_add_f16_e32 v97, v97, v101
	v_fma_f16 v100, v54, s25, v100
	v_fma_f16 v101, v57, s11, v55
	;; [unrolled: 1-line block ×3, first 2 shown]
	v_fma_f16 v55, v57, s11, -v55
	v_fma_f16 v54, v54, s14, v61
	v_add_f16_e32 v57, v36, v53
	v_sub_f16_e32 v36, v36, v53
	v_add_f16_e32 v54, v54, v56
	v_add_f16_e32 v56, v35, v52
	v_sub_f16_e32 v35, v35, v52
	v_mul_f16_e32 v52, 0xb94e, v36
	v_add_f16_e32 v55, v55, v58
	v_fma_f16 v53, v56, s21, v52
	v_mul_f16_e32 v58, 0xb9fd, v57
	v_add_f16_e32 v53, v53, v60
	v_fma_f16 v60, v35, s22, v58
	v_fma_f16 v52, v56, s21, -v52
	v_fma_f16 v58, v35, s20, v58
	v_add_f16_e32 v52, v52, v59
	v_add_f16_e32 v58, v58, v62
	v_mul_f16_e32 v59, 0x3bf1, v36
	v_mul_f16_e32 v62, 0x2fb7, v57
	v_add_f16_e32 v60, v60, v63
	v_fma_f16 v61, v56, s15, v59
	v_fma_f16 v63, v35, s10, v62
	v_fma_f16 v59, v56, s15, -v59
	v_fma_f16 v62, v35, s16, v62
	v_add_f16_e32 v59, v59, v64
	v_add_f16_e32 v62, v62, v66
	v_mul_f16_e32 v64, 0xba95, v36
	v_mul_f16_e32 v66, 0x388b, v57
	v_add_f16_e32 v61, v61, v65
	v_add_f16_e32 v63, v63, v67
	v_fma_f16 v65, v56, s11, v64
	v_fma_f16 v67, v35, s14, v66
	v_fma_f16 v64, v56, s11, -v64
	v_fma_f16 v66, v35, s6, v66
	v_add_f16_e32 v64, v64, v68
	v_add_f16_e32 v66, v66, v74
	v_mul_f16_e32 v68, 0x33a8, v36
	v_mul_f16_e32 v74, 0xbbc4, v57
	v_add_f16_e32 v110, v110, v112
	v_add_f16_e32 v109, v109, v113
	;; [unrolled: 1-line block ×4, first 2 shown]
	v_fma_f16 v69, v56, s24, v68
	v_fma_f16 v94, v35, s23, v74
	v_fma_f16 v68, v56, s24, -v68
	v_fma_f16 v74, v35, s25, v74
	v_add_f16_e32 v111, v111, v114
	v_add_f16_e32 v106, v106, v110
	;; [unrolled: 1-line block ×5, first 2 shown]
	v_mul_f16_e32 v91, 0x3770, v36
	v_mul_f16_e32 v96, 0x3b15, v57
	v_add_f16_e32 v104, v104, v108
	v_add_f16_e32 v107, v107, v111
	;; [unrolled: 1-line block ×6, first 2 shown]
	v_fma_f16 v95, v56, s5, v91
	v_fma_f16 v98, v35, s4, v96
	v_mul_f16_e32 v57, 0xb5ac, v57
	v_sub_f16_e32 v105, v32, v34
	v_add_f16_e32 v100, v100, v104
	v_add_f16_e32 v103, v103, v107
	;; [unrolled: 1-line block ×4, first 2 shown]
	v_fma_f16 v99, v35, s19, v57
	v_add_f16_e32 v102, v24, v33
	v_sub_f16_e32 v104, v24, v33
	v_mul_f16_e32 v24, 0xb3a8, v105
	v_add_f16_e32 v99, v99, v103
	v_add_f16_e32 v103, v32, v34
	v_fma_f16 v32, v102, s24, v24
	v_fma_f16 v91, v56, s5, -v91
	v_mul_f16_e32 v36, 0xbb7b, v36
	v_add_f16_e32 v33, v32, v53
	v_mul_f16_e32 v32, 0xbbc4, v103
	v_add_f16_e32 v91, v91, v97
	v_fma_f16 v96, v35, s7, v96
	v_fma_f16 v97, v56, s18, v36
	v_fma_f16 v36, v56, s18, -v36
	v_fma_f16 v34, v104, s25, v32
	v_add_f16_e32 v96, v96, v100
	v_add_f16_e32 v100, v36, v55
	v_fma_f16 v35, v35, s17, v57
	v_add_f16_e32 v36, v34, v60
	v_mul_f16_e32 v34, 0x3770, v105
	v_add_f16_e32 v97, v97, v101
	v_add_f16_e32 v101, v35, v54
	v_fma_f16 v24, v102, s24, -v24
	v_fma_f16 v35, v102, s5, v34
	v_mul_f16_e32 v60, 0x388b, v103
	v_add_f16_e32 v24, v24, v52
	v_add_f16_e32 v52, v35, v61
	v_fma_f16 v61, v104, s6, v60
	v_fma_f16 v60, v104, s14, v60
	v_add_f16_e32 v60, v60, v74
	v_lshrrev_b32_e32 v74, 1, v4
	v_mul_u32_u24_e32 v74, 26, v74
	v_or_b32_e32 v74, v74, v2
	v_lshl_add_u32 v74, v74, 2, 0
	v_pack_b32_f16 v1, v1, v3
	v_pack_b32_f16 v3, v92, v93
	ds_write2_b32 v74, v1, v3 offset1:2
	v_pack_b32_f16 v1, v87, v88
	v_pack_b32_f16 v3, v89, v90
	ds_write2_b32 v74, v1, v3 offset0:4 offset1:6
	v_pack_b32_f16 v1, v83, v84
	v_pack_b32_f16 v3, v85, v86
	ds_write2_b32 v74, v1, v3 offset0:8 offset1:10
	;; [unrolled: 3-line block ×4, first 2 shown]
	v_pack_b32_f16 v3, v70, v71
	v_lshrrev_b32_e32 v70, 1, v8
	v_mul_lo_u32 v70, v70, 26
	v_mul_f16_e32 v54, 0xb94e, v105
	v_fma_f16 v32, v104, s23, v32
	v_mul_f16_e32 v35, 0x3b15, v103
	v_fma_f16 v55, v102, s21, v54
	v_add_f16_e32 v32, v32, v58
	v_fma_f16 v53, v104, s4, v35
	v_fma_f16 v34, v102, s5, -v34
	v_add_f16_e32 v56, v55, v65
	v_mul_f16_e32 v55, 0xb9fd, v103
	v_fma_f16 v54, v102, s21, -v54
	v_mul_f16_e32 v58, 0x3a95, v105
	v_pack_b32_f16 v0, v0, v21
	v_add_f16_e32 v53, v53, v63
	v_add_f16_e32 v34, v34, v59
	v_fma_f16 v35, v104, s7, v35
	v_fma_f16 v57, v104, s22, v55
	v_add_f16_e32 v54, v54, v64
	v_fma_f16 v59, v102, s11, v58
	v_fma_f16 v58, v102, s11, -v58
	v_mul_f16_e32 v63, 0xbb7b, v105
	v_mul_f16_e32 v64, 0xb5ac, v103
	v_pack_b32_f16 v1, v72, v73
	ds_write_b32 v74, v0 offset:96
	v_or_b32_e32 v0, v70, v2
	v_add_f16_e32 v35, v35, v62
	v_add_f16_e32 v57, v57, v67
	v_fma_f16 v55, v104, s20, v55
	v_add_f16_e32 v59, v59, v69
	v_add_f16_e32 v58, v58, v68
	v_fma_f16 v62, v102, s18, v63
	v_fma_f16 v65, v104, s19, v64
	v_mul_f16_e32 v68, 0x3bf1, v105
	v_mul_f16_e32 v69, 0x2fb7, v103
	ds_write2_b32 v74, v1, v3 offset0:20 offset1:22
	v_lshl_add_u32 v0, v0, 2, 0
	v_pack_b32_f16 v1, v22, v23
	v_pack_b32_f16 v2, v33, v36
	v_add_f16_e32 v55, v55, v66
	v_add_f16_e32 v61, v61, v94
	;; [unrolled: 1-line block ×4, first 2 shown]
	v_fma_f16 v66, v102, s15, v68
	v_fma_f16 v67, v104, s10, v69
	v_fma_f16 v68, v102, s15, -v68
	v_fma_f16 v69, v104, s16, v69
	ds_write2_b32 v0, v1, v2 offset1:2
	v_pack_b32_f16 v1, v52, v53
	v_pack_b32_f16 v2, v56, v57
	v_fma_f16 v63, v102, s18, -v63
	v_fma_f16 v64, v104, s17, v64
	v_add_f16_e32 v66, v66, v97
	v_add_f16_e32 v67, v67, v99
	;; [unrolled: 1-line block ×4, first 2 shown]
	ds_write2_b32 v0, v1, v2 offset0:4 offset1:6
	v_pack_b32_f16 v1, v59, v61
	v_pack_b32_f16 v2, v62, v65
	v_add_f16_e32 v63, v63, v91
	v_add_f16_e32 v64, v64, v96
	ds_write2_b32 v0, v1, v2 offset0:8 offset1:10
	v_pack_b32_f16 v1, v66, v67
	v_pack_b32_f16 v2, v68, v69
	ds_write2_b32 v0, v1, v2 offset0:12 offset1:14
	v_pack_b32_f16 v1, v63, v64
	v_pack_b32_f16 v2, v58, v60
	;; [unrolled: 3-line block ×3, first 2 shown]
	v_subrev_u32_e32 v52, 26, v4
	ds_write2_b32 v0, v1, v2 offset0:20 offset1:22
	v_pack_b32_f16 v1, v24, v32
	v_cndmask_b32_e32 v32, v52, v4, vcc
	v_mul_i32_i24_e32 v21, 12, v32
	v_mov_b32_e32 v22, 0
	ds_write_b32 v0, v1 offset:96
	v_lshlrev_b64 v[0:1], 2, v[21:22]
	v_mov_b32_e32 v2, s9
	v_add_co_u32_e64 v23, s[2:3], s8, v0
	v_addc_co_u32_e64 v24, s[2:3], v2, v1, s[2:3]
	s_waitcnt lgkmcnt(0)
	; wave barrier
	s_waitcnt lgkmcnt(0)
	global_load_dwordx4 v[0:3], v[23:24], off offset:96
	global_load_dwordx4 v[53:56], v[23:24], off offset:112
	ds_read_b32 v33, v51
	ds_read_b32 v65, v28
	;; [unrolled: 1-line block ×5, first 2 shown]
	global_load_dwordx4 v[57:60], v[23:24], off offset:128
	s_movk_i32 s2, 0x4f
	v_mul_lo_u16_sdwa v21, v8, s2 dst_sel:DWORD dst_unused:UNUSED_PAD src0_sel:BYTE_0 src1_sel:DWORD
	v_lshrrev_b16_e32 v28, 11, v21
	v_mul_lo_u16_e32 v21, 26, v28
	v_sub_u16_e32 v21, v8, v21
	v_mov_b32_e32 v36, 12
	v_mul_u32_u24_sdwa v36, v21, v36 dst_sel:DWORD dst_unused:UNUSED_PAD src0_sel:BYTE_0 src1_sel:DWORD
	v_lshlrev_b32_e32 v70, 2, v36
	ds_read2_b32 v[23:24], v37 offset1:156
	ds_read2_b32 v[29:30], v44 offset0:164 offset1:216
	ds_read2_b32 v[34:35], v46 offset0:12 offset1:64
	;; [unrolled: 1-line block ×3, first 2 shown]
	global_load_dwordx4 v[61:64], v70, s[8:9] offset:96
	global_load_dwordx4 v[83:86], v70, s[8:9] offset:112
	ds_read2_b32 v[93:94], v26 offset0:92 offset1:144
	ds_read2_b32 v[95:96], v45 offset0:68 offset1:120
	;; [unrolled: 1-line block ×5, first 2 shown]
	ds_read_b32 v73, v50
	ds_read_b32 v36, v41
	ds_read_b32 v112, v37 offset:5200
	global_load_dwordx4 v[87:90], v70, s[8:9] offset:128
	s_waitcnt lgkmcnt(14)
	v_lshrrev_b32_e32 v68, 16, v66
	s_waitcnt lgkmcnt(2)
	v_lshrrev_b32_e32 v74, 16, v73
	v_lshrrev_b32_e32 v69, 16, v67
	;; [unrolled: 1-line block ×20, first 2 shown]
	s_waitcnt lgkmcnt(0)
	v_lshrrev_b32_e32 v117, 16, v112
	v_cmp_lt_u32_e64 s[2:3], 25, v4
	v_lshlrev_b32_e32 v32, 2, v32
	s_waitcnt lgkmcnt(0)
	; wave barrier
	s_waitcnt vmcnt(5)
	v_mul_f16_sdwa v76, v0, v74 dst_sel:DWORD dst_unused:UNUSED_PAD src0_sel:WORD_1 src1_sel:DWORD
	v_fma_f16 v118, v0, v73, v76
	v_mul_f16_sdwa v73, v0, v73 dst_sel:DWORD dst_unused:UNUSED_PAD src0_sel:WORD_1 src1_sel:DWORD
	v_fma_f16 v119, v0, v74, -v73
	v_lshrrev_b32_e32 v0, 16, v33
	v_mul_f16_sdwa v70, v1, v0 dst_sel:DWORD dst_unused:UNUSED_PAD src0_sel:WORD_1 src1_sel:DWORD
	v_fma_f16 v82, v1, v33, v70
	v_mul_f16_sdwa v33, v1, v33 dst_sel:DWORD dst_unused:UNUSED_PAD src0_sel:WORD_1 src1_sel:DWORD
	v_fma_f16 v81, v1, v0, -v33
	v_lshrrev_b32_e32 v0, 16, v65
	v_mul_f16_sdwa v1, v2, v0 dst_sel:DWORD dst_unused:UNUSED_PAD src0_sel:WORD_1 src1_sel:DWORD
	v_fma_f16 v78, v2, v65, v1
	v_mul_f16_sdwa v1, v2, v65 dst_sel:DWORD dst_unused:UNUSED_PAD src0_sel:WORD_1 src1_sel:DWORD
	v_fma_f16 v77, v2, v0, -v1
	v_mul_f16_sdwa v0, v68, v3 dst_sel:DWORD dst_unused:UNUSED_PAD src0_sel:DWORD src1_sel:WORD_1
	v_fma_f16 v74, v66, v3, v0
	v_mul_f16_sdwa v0, v66, v3 dst_sel:DWORD dst_unused:UNUSED_PAD src0_sel:DWORD src1_sel:WORD_1
	v_fma_f16 v73, v68, v3, -v0
	s_waitcnt vmcnt(4)
	v_mul_f16_sdwa v0, v69, v53 dst_sel:DWORD dst_unused:UNUSED_PAD src0_sel:DWORD src1_sel:WORD_1
	v_fma_f16 v70, v67, v53, v0
	v_mul_f16_sdwa v0, v67, v53 dst_sel:DWORD dst_unused:UNUSED_PAD src0_sel:DWORD src1_sel:WORD_1
	v_fma_f16 v69, v69, v53, -v0
	v_mul_f16_sdwa v0, v71, v54 dst_sel:DWORD dst_unused:UNUSED_PAD src0_sel:DWORD src1_sel:WORD_1
	v_fma_f16 v3, v31, v54, v0
	v_mul_f16_sdwa v0, v31, v54 dst_sel:DWORD dst_unused:UNUSED_PAD src0_sel:DWORD src1_sel:WORD_1
	v_fma_f16 v2, v71, v54, -v0
	v_mul_f16_sdwa v0, v72, v55 dst_sel:DWORD dst_unused:UNUSED_PAD src0_sel:DWORD src1_sel:WORD_1
	v_fma_f16 v68, v30, v55, v0
	v_mul_f16_sdwa v0, v30, v55 dst_sel:DWORD dst_unused:UNUSED_PAD src0_sel:DWORD src1_sel:WORD_1
	v_fma_f16 v67, v72, v55, -v0
	v_mul_f16_sdwa v0, v75, v56 dst_sel:DWORD dst_unused:UNUSED_PAD src0_sel:DWORD src1_sel:WORD_1
	v_fma_f16 v72, v35, v56, v0
	v_mul_f16_sdwa v0, v35, v56 dst_sel:DWORD dst_unused:UNUSED_PAD src0_sel:DWORD src1_sel:WORD_1
	v_fma_f16 v71, v75, v56, -v0
	s_waitcnt vmcnt(3)
	v_mul_f16_sdwa v0, v79, v57 dst_sel:DWORD dst_unused:UNUSED_PAD src0_sel:DWORD src1_sel:WORD_1
	v_fma_f16 v76, v92, v57, v0
	v_mul_f16_sdwa v0, v92, v57 dst_sel:DWORD dst_unused:UNUSED_PAD src0_sel:DWORD src1_sel:WORD_1
	v_fma_f16 v75, v79, v57, -v0
	v_mul_f16_sdwa v0, v103, v58 dst_sel:DWORD dst_unused:UNUSED_PAD src0_sel:DWORD src1_sel:WORD_1
	v_fma_f16 v80, v94, v58, v0
	v_mul_f16_sdwa v0, v94, v58 dst_sel:DWORD dst_unused:UNUSED_PAD src0_sel:DWORD src1_sel:WORD_1
	v_fma_f16 v79, v103, v58, -v0
	v_mul_f16_sdwa v0, v104, v59 dst_sel:DWORD dst_unused:UNUSED_PAD src0_sel:DWORD src1_sel:WORD_1
	v_fma_f16 v94, v96, v59, v0
	v_mul_f16_sdwa v0, v96, v59 dst_sel:DWORD dst_unused:UNUSED_PAD src0_sel:DWORD src1_sel:WORD_1
	;; [unrolled: 17-line block ×5, first 2 shown]
	v_fma_f16 v64, v116, v89, -v0
	v_mul_f16_sdwa v0, v117, v90 dst_sel:DWORD dst_unused:UNUSED_PAD src0_sel:DWORD src1_sel:WORD_1
	v_fma_f16 v91, v112, v90, v0
	v_mul_f16_sdwa v0, v112, v90 dst_sel:DWORD dst_unused:UNUSED_PAD src0_sel:DWORD src1_sel:WORD_1
	v_fma_f16 v92, v117, v90, -v0
	v_add_f16_e32 v0, v118, v23
	v_add_f16_sdwa v1, v119, v23 dst_sel:DWORD dst_unused:UNUSED_PAD src0_sel:DWORD src1_sel:WORD_1
	v_add_f16_e32 v0, v0, v82
	v_add_f16_e32 v1, v1, v81
	;; [unrolled: 1-line block ×20, first 2 shown]
	v_sub_f16_e32 v86, v119, v98
	v_add_f16_e32 v1, v1, v96
	v_add_f16_e32 v0, v0, v103
	;; [unrolled: 1-line block ×3, first 2 shown]
	v_sub_f16_e32 v85, v118, v103
	v_mul_f16_e32 v87, 0xb770, v86
	v_mul_f16_e32 v89, 0x3b15, v84
	;; [unrolled: 1-line block ×12, first 2 shown]
	v_add_f16_e32 v1, v1, v98
	v_fma_f16 v88, v83, s5, v87
	v_fma_f16 v90, v85, s7, v89
	v_fma_f16 v87, v83, s5, -v87
	v_fma_f16 v89, v85, s4, v89
	v_fma_f16 v95, v83, s11, v93
	v_fma_f16 v98, v85, s14, v97
	v_fma_f16 v93, v83, s11, -v93
	v_fma_f16 v97, v85, s6, v97
	;; [unrolled: 4-line block ×6, first 2 shown]
	v_add_f16_e32 v85, v81, v96
	v_sub_f16_e32 v81, v81, v96
	v_add_f16_e32 v88, v88, v23
	v_add_f16_sdwa v90, v90, v23 dst_sel:DWORD dst_unused:UNUSED_PAD src0_sel:DWORD src1_sel:WORD_1
	v_add_f16_e32 v87, v87, v23
	v_add_f16_sdwa v89, v89, v23 dst_sel:DWORD dst_unused:UNUSED_PAD src0_sel:DWORD src1_sel:WORD_1
	;; [unrolled: 2-line block ×12, first 2 shown]
	v_add_f16_e32 v84, v82, v94
	v_mul_f16_e32 v86, 0xba95, v81
	v_sub_f16_e32 v82, v82, v94
	v_fma_f16 v94, v84, s11, v86
	v_add_f16_e32 v88, v94, v88
	v_mul_f16_e32 v94, 0x388b, v85
	v_fma_f16 v86, v84, s11, -v86
	v_add_f16_e32 v86, v86, v87
	v_fma_f16 v87, v82, s6, v94
	v_add_f16_e32 v87, v87, v89
	v_mul_f16_e32 v89, 0xbb7b, v81
	v_fma_f16 v96, v82, s14, v94
	v_fma_f16 v94, v84, s18, v89
	v_add_f16_e32 v94, v94, v95
	v_mul_f16_e32 v95, 0xb5ac, v85
	v_fma_f16 v89, v84, s18, -v89
	v_add_f16_e32 v90, v96, v90
	v_fma_f16 v96, v82, s19, v95
	v_add_f16_e32 v89, v89, v93
	v_fma_f16 v93, v82, s17, v95
	v_mul_f16_e32 v95, 0xb3a8, v81
	v_add_f16_e32 v96, v96, v98
	v_add_f16_e32 v93, v93, v97
	v_fma_f16 v97, v84, s24, v95
	v_mul_f16_e32 v98, 0xbbc4, v85
	v_fma_f16 v95, v84, s24, -v95
	v_add_f16_e32 v97, v97, v100
	v_fma_f16 v100, v82, s25, v98
	v_add_f16_e32 v95, v95, v99
	v_fma_f16 v98, v82, s23, v98
	v_mul_f16_e32 v99, 0x394e, v81
	v_add_f16_e32 v100, v100, v102
	v_add_f16_e32 v98, v98, v101
	v_fma_f16 v101, v84, s21, v99
	;; [unrolled: 10-line block ×3, first 2 shown]
	v_mul_f16_e32 v106, 0x2fb7, v85
	v_fma_f16 v103, v84, s15, -v103
	v_mul_f16_e32 v81, 0x3770, v81
	v_add_f16_e32 v105, v105, v108
	v_fma_f16 v108, v82, s10, v106
	v_add_f16_e32 v103, v103, v107
	v_fma_f16 v106, v82, s16, v106
	v_fma_f16 v107, v84, s5, v81
	v_mul_f16_e32 v85, 0x3b15, v85
	v_fma_f16 v81, v84, s5, -v81
	v_add_f16_e32 v106, v106, v109
	v_fma_f16 v109, v82, s4, v85
	v_add_f16_e32 v81, v81, v83
	v_fma_f16 v82, v82, s7, v85
	v_add_f16_e32 v83, v77, v79
	v_sub_f16_e32 v77, v77, v79
	v_add_f16_e32 v23, v82, v23
	v_add_f16_e32 v82, v78, v80
	v_mul_f16_e32 v79, 0xbbf1, v77
	v_sub_f16_e32 v78, v78, v80
	v_fma_f16 v80, v82, s15, v79
	v_mul_f16_e32 v84, 0x2fb7, v83
	v_fma_f16 v79, v82, s15, -v79
	v_fma_f16 v85, v78, s16, v84
	v_add_f16_e32 v79, v79, v86
	v_fma_f16 v84, v78, s10, v84
	v_mul_f16_e32 v86, 0xb3a8, v77
	v_add_f16_e32 v80, v80, v88
	v_add_f16_e32 v84, v84, v87
	v_fma_f16 v87, v82, s24, v86
	v_mul_f16_e32 v88, 0xbbc4, v83
	v_fma_f16 v86, v82, s24, -v86
	v_add_f16_e32 v85, v85, v90
	v_fma_f16 v90, v78, s25, v88
	v_add_f16_e32 v86, v86, v89
	v_fma_f16 v88, v78, s23, v88
	v_mul_f16_e32 v89, 0x3b7b, v77
	v_add_f16_e32 v88, v88, v93
	v_fma_f16 v93, v82, s18, v89
	v_fma_f16 v89, v82, s18, -v89
	v_add_f16_e32 v87, v87, v94
	v_mul_f16_e32 v94, 0xb5ac, v83
	v_add_f16_e32 v89, v89, v95
	v_mul_f16_e32 v95, 0x3770, v77
	v_add_f16_e32 v90, v90, v96
	v_add_f16_e32 v93, v93, v97
	v_fma_f16 v96, v78, s17, v94
	v_fma_f16 v94, v78, s19, v94
	;; [unrolled: 1-line block ×3, first 2 shown]
	v_fma_f16 v95, v82, s5, -v95
	v_add_f16_e32 v94, v94, v98
	v_mul_f16_e32 v98, 0x3b15, v83
	v_add_f16_e32 v95, v95, v99
	v_mul_f16_e32 v99, 0xba95, v77
	v_add_f16_e32 v96, v96, v100
	v_add_f16_e32 v97, v97, v101
	v_fma_f16 v100, v78, s4, v98
	v_fma_f16 v98, v78, s7, v98
	;; [unrolled: 1-line block ×3, first 2 shown]
	v_fma_f16 v99, v82, s11, -v99
	v_mul_f16_e32 v77, 0xb94e, v77
	v_add_f16_e32 v98, v98, v102
	v_mul_f16_e32 v102, 0x388b, v83
	v_add_f16_e32 v99, v99, v103
	v_fma_f16 v103, v82, s21, v77
	v_mul_f16_e32 v83, 0xb9fd, v83
	v_fma_f16 v77, v82, s21, -v77
	v_add_f16_e32 v100, v100, v104
	v_add_f16_e32 v101, v101, v105
	v_fma_f16 v104, v78, s14, v102
	v_fma_f16 v102, v78, s6, v102
	;; [unrolled: 1-line block ×3, first 2 shown]
	v_add_f16_e32 v77, v77, v81
	v_fma_f16 v78, v78, s20, v83
	v_add_f16_e32 v81, v73, v75
	v_sub_f16_e32 v73, v73, v75
	v_add_f16_e32 v23, v78, v23
	v_add_f16_e32 v78, v74, v76
	v_mul_f16_e32 v75, 0xbb7b, v73
	v_sub_f16_e32 v74, v74, v76
	v_fma_f16 v76, v78, s18, v75
	v_add_f16_e32 v76, v76, v80
	v_mul_f16_e32 v80, 0xb5ac, v81
	v_fma_f16 v75, v78, s18, -v75
	v_fma_f16 v82, v74, s19, v80
	v_add_f16_e32 v75, v75, v79
	v_fma_f16 v79, v74, s17, v80
	v_mul_f16_e32 v80, 0x394e, v73
	v_fma_f16 v83, v78, s21, v80
	v_fma_f16 v80, v78, s21, -v80
	v_add_f16_e32 v79, v79, v84
	v_mul_f16_e32 v84, 0xb9fd, v81
	v_add_f16_e32 v80, v80, v86
	v_mul_f16_e32 v86, 0x3770, v73
	v_add_f16_e32 v82, v82, v85
	v_add_f16_e32 v83, v83, v87
	v_fma_f16 v85, v74, s20, v84
	v_fma_f16 v84, v74, s22, v84
	v_fma_f16 v87, v78, s5, v86
	v_fma_f16 v86, v78, s5, -v86
	v_add_f16_e32 v84, v84, v88
	v_mul_f16_e32 v88, 0x3b15, v81
	v_add_f16_e32 v86, v86, v89
	v_mul_f16_e32 v89, 0xbbf1, v73
	v_add_f16_e32 v85, v85, v90
	v_add_f16_e32 v87, v87, v93
	v_fma_f16 v90, v74, s4, v88
	v_fma_f16 v88, v74, s7, v88
	;; [unrolled: 10-line block ×3, first 2 shown]
	v_fma_f16 v97, v78, s24, v95
	v_fma_f16 v95, v78, s24, -v95
	v_mul_f16_e32 v73, 0x3a95, v73
	v_add_f16_e32 v94, v94, v98
	v_mul_f16_e32 v98, 0xbbc4, v81
	v_add_f16_e32 v95, v95, v99
	v_fma_f16 v99, v78, s11, v73
	v_mul_f16_e32 v81, 0x388b, v81
	v_fma_f16 v73, v78, s11, -v73
	v_add_f16_e32 v96, v96, v100
	v_add_f16_e32 v97, v97, v101
	v_fma_f16 v100, v74, s23, v98
	v_fma_f16 v98, v74, s25, v98
	;; [unrolled: 1-line block ×3, first 2 shown]
	v_add_f16_e32 v73, v73, v77
	v_fma_f16 v74, v74, s14, v81
	v_add_f16_e32 v77, v69, v71
	v_sub_f16_e32 v69, v69, v71
	v_add_f16_e32 v23, v74, v23
	v_add_f16_e32 v74, v70, v72
	v_mul_f16_e32 v71, 0xb94e, v69
	v_sub_f16_e32 v70, v70, v72
	v_fma_f16 v72, v74, s21, v71
	v_add_f16_e32 v72, v72, v76
	v_mul_f16_e32 v76, 0xb9fd, v77
	v_fma_f16 v71, v74, s21, -v71
	v_add_f16_e32 v75, v71, v75
	v_fma_f16 v71, v70, s20, v76
	v_fma_f16 v78, v70, s22, v76
	v_add_f16_e32 v76, v71, v79
	v_mul_f16_e32 v71, 0x3bf1, v69
	v_fma_f16 v79, v74, s15, v71
	v_mul_f16_e32 v81, 0x2fb7, v77
	v_fma_f16 v71, v74, s15, -v71
	v_add_f16_e32 v80, v71, v80
	v_fma_f16 v71, v70, s16, v81
	v_add_f16_e32 v78, v78, v82
	v_fma_f16 v82, v70, s10, v81
	v_add_f16_e32 v81, v71, v84
	v_mul_f16_e32 v71, 0xba95, v69
	v_add_f16_e32 v79, v79, v83
	v_fma_f16 v83, v74, s11, v71
	v_mul_f16_e32 v84, 0x388b, v77
	v_fma_f16 v71, v74, s11, -v71
	v_add_f16_e32 v86, v71, v86
	v_fma_f16 v71, v70, s6, v84
	v_add_f16_e32 v82, v82, v85
	v_fma_f16 v85, v70, s14, v84
	v_add_f16_e32 v84, v71, v88
	v_mul_f16_e32 v71, 0x33a8, v69
	v_add_f16_e32 v83, v83, v87
	;; [unrolled: 10-line block ×3, first 2 shown]
	v_add_f16_e32 v102, v102, v106
	v_add_f16_e32 v87, v87, v93
	v_fma_f16 v93, v74, s5, v71
	v_mul_f16_e32 v94, 0x3b15, v77
	v_fma_f16 v71, v74, s5, -v71
	v_add_f16_e32 v103, v103, v107
	v_add_f16_e32 v98, v98, v102
	;; [unrolled: 1-line block ×3, first 2 shown]
	v_fma_f16 v71, v70, s7, v94
	v_mul_f16_e32 v69, 0xbb7b, v69
	v_add_f16_e32 v109, v109, v112
	v_add_f16_e32 v99, v99, v103
	;; [unrolled: 1-line block ×3, first 2 shown]
	v_fma_f16 v96, v70, s4, v94
	v_add_f16_e32 v94, v71, v98
	v_fma_f16 v71, v74, s18, v69
	v_add_f16_e32 v108, v108, v110
	v_add_f16_e32 v105, v105, v109
	v_add_f16_e32 v93, v93, v97
	v_add_f16_e32 v97, v71, v99
	v_mul_f16_e32 v71, 0xb5ac, v77
	v_add_f16_e32 v104, v104, v108
	v_add_f16_e32 v101, v101, v105
	v_fma_f16 v77, v70, s19, v71
	v_add_f16_e32 v100, v100, v104
	v_add_f16_e32 v98, v77, v101
	;; [unrolled: 1-line block ×3, first 2 shown]
	v_sub_f16_e32 v2, v2, v67
	v_add_f16_e32 v96, v96, v100
	v_fma_f16 v69, v74, s18, -v69
	v_add_f16_e32 v100, v3, v68
	v_mul_f16_e32 v67, 0xb3a8, v2
	v_add_f16_e32 v99, v69, v73
	v_fma_f16 v69, v70, s17, v71
	v_sub_f16_e32 v3, v3, v68
	v_fma_f16 v68, v100, s24, v67
	v_add_f16_e32 v23, v69, v23
	v_add_f16_e32 v69, v68, v72
	v_mul_f16_e32 v68, 0xbbc4, v101
	v_fma_f16 v70, v3, s25, v68
	v_add_f16_e32 v71, v70, v78
	v_mul_f16_e32 v70, 0x3770, v2
	v_fma_f16 v72, v100, s5, v70
	v_add_f16_e32 v74, v72, v79
	v_mul_f16_e32 v72, 0x3b15, v101
	v_fma_f16 v67, v100, s24, -v67
	v_fma_f16 v73, v3, s4, v72
	v_add_f16_e32 v67, v67, v75
	v_fma_f16 v68, v3, s23, v68
	v_add_f16_e32 v75, v73, v82
	v_mul_f16_e32 v73, 0xb94e, v2
	v_add_f16_e32 v68, v68, v76
	v_fma_f16 v76, v100, s21, v73
	v_fma_f16 v72, v3, s7, v72
	v_add_f16_e32 v77, v76, v83
	v_mul_f16_e32 v76, 0xb9fd, v101
	v_fma_f16 v70, v100, s5, -v70
	v_add_f16_e32 v72, v72, v81
	v_fma_f16 v78, v3, s22, v76
	v_fma_f16 v76, v3, s20, v76
	v_mul_f16_e32 v79, 0x3a95, v2
	v_mul_f16_e32 v81, 0x388b, v101
	v_add_f16_e32 v70, v70, v80
	v_add_f16_e32 v76, v76, v84
	v_fma_f16 v80, v100, s11, v79
	v_fma_f16 v82, v3, s6, v81
	v_mul_f16_e32 v84, 0xbb7b, v2
	v_mul_f16_e32 v2, 0x3bf1, v2
	v_add_f16_e32 v80, v80, v87
	v_add_f16_e32 v82, v82, v90
	v_fma_f16 v79, v100, s11, -v79
	v_fma_f16 v87, v100, s15, v2
	v_mul_f16_e32 v90, 0x2fb7, v101
	v_fma_f16 v2, v100, s15, -v2
	v_add_f16_e32 v79, v79, v89
	v_fma_f16 v81, v3, s14, v81
	v_add_f16_e32 v89, v2, v99
	v_fma_f16 v2, v3, s16, v90
	v_add_f16_e32 v78, v78, v85
	v_fma_f16 v73, v100, s21, -v73
	v_add_f16_e32 v81, v81, v88
	v_mul_f16_e32 v85, 0xb5ac, v101
	v_fma_f16 v88, v3, s10, v90
	v_add_f16_e32 v90, v2, v23
	v_add_f16_e32 v2, v65, v36
	;; [unrolled: 1-line block ×3, first 2 shown]
	v_fma_f16 v86, v3, s19, v85
	v_fma_f16 v85, v3, s17, v85
	v_add_f16_sdwa v3, v66, v36 dst_sel:DWORD dst_unused:UNUSED_PAD src0_sel:DWORD src1_sel:WORD_1
	v_add_f16_e32 v2, v2, v61
	v_add_f16_e32 v3, v3, v62
	;; [unrolled: 1-line block ×15, first 2 shown]
	v_fma_f16 v83, v100, s18, v84
	v_add_f16_e32 v3, v3, v56
	v_add_f16_e32 v2, v2, v59
	;; [unrolled: 1-line block ×6, first 2 shown]
	v_sub_f16_e32 v66, v66, v92
	v_add_f16_e32 v86, v86, v96
	v_fma_f16 v84, v100, s18, -v84
	v_add_f16_e32 v85, v85, v94
	v_add_f16_e32 v88, v88, v98
	;; [unrolled: 1-line block ×5, first 2 shown]
	v_sub_f16_e32 v65, v65, v91
	v_mul_f16_e32 v91, 0xb770, v66
	v_mul_f16_e32 v94, 0x3b15, v93
	v_mul_f16_e32 v96, 0xba95, v66
	v_mul_f16_e32 v98, 0x388b, v93
	v_mul_f16_e32 v100, 0xbbf1, v66
	v_mul_f16_e32 v102, 0x2fb7, v93
	v_mul_f16_e32 v104, 0xbb7b, v66
	v_mul_f16_e32 v106, 0xb5ac, v93
	v_mul_f16_e32 v108, 0xb94e, v66
	v_mul_f16_e32 v110, 0xb9fd, v93
	v_mul_f16_e32 v66, 0xb3a8, v66
	v_mul_f16_e32 v93, 0xbbc4, v93
	v_add_f16_e32 v84, v84, v95
	v_add_f16_e32 v87, v87, v97
	v_add_f16_e32 v3, v3, v92
	v_fma_f16 v92, v23, s5, v91
	v_fma_f16 v95, v65, s7, v94
	v_fma_f16 v91, v23, s5, -v91
	v_fma_f16 v94, v65, s4, v94
	v_fma_f16 v97, v23, s11, v96
	v_fma_f16 v99, v65, s14, v98
	v_fma_f16 v96, v23, s11, -v96
	v_fma_f16 v98, v65, s6, v98
	;; [unrolled: 4-line block ×6, first 2 shown]
	v_add_f16_e32 v66, v62, v64
	v_sub_f16_e32 v62, v62, v64
	v_add_f16_e32 v92, v92, v36
	v_add_f16_sdwa v95, v95, v36 dst_sel:DWORD dst_unused:UNUSED_PAD src0_sel:DWORD src1_sel:WORD_1
	v_add_f16_e32 v91, v91, v36
	v_add_f16_sdwa v94, v94, v36 dst_sel:DWORD dst_unused:UNUSED_PAD src0_sel:DWORD src1_sel:WORD_1
	;; [unrolled: 2-line block ×12, first 2 shown]
	v_add_f16_e32 v65, v61, v63
	v_sub_f16_e32 v61, v61, v63
	v_mul_f16_e32 v63, 0xba95, v62
	v_fma_f16 v64, v65, s11, v63
	v_add_f16_e32 v64, v64, v92
	v_mul_f16_e32 v92, 0x388b, v66
	v_fma_f16 v63, v65, s11, -v63
	v_fma_f16 v93, v61, s14, v92
	v_add_f16_e32 v63, v63, v91
	v_fma_f16 v91, v61, s6, v92
	v_mul_f16_e32 v92, 0xbb7b, v62
	v_add_f16_e32 v93, v93, v95
	v_add_f16_e32 v91, v91, v94
	v_fma_f16 v94, v65, s18, v92
	v_mul_f16_e32 v95, 0xb5ac, v66
	v_fma_f16 v92, v65, s18, -v92
	v_add_f16_e32 v94, v94, v97
	v_fma_f16 v97, v61, s19, v95
	v_add_f16_e32 v92, v92, v96
	v_fma_f16 v95, v61, s17, v95
	v_mul_f16_e32 v96, 0xb3a8, v62
	v_add_f16_e32 v97, v97, v99
	v_add_f16_e32 v95, v95, v98
	v_fma_f16 v98, v65, s24, v96
	v_mul_f16_e32 v99, 0xbbc4, v66
	v_fma_f16 v96, v65, s24, -v96
	v_add_f16_e32 v98, v98, v101
	;; [unrolled: 10-line block ×3, first 2 shown]
	v_fma_f16 v105, v61, s20, v103
	v_add_f16_e32 v100, v100, v104
	v_fma_f16 v103, v61, s22, v103
	v_mul_f16_e32 v104, 0x3bf1, v62
	v_add_f16_e32 v105, v105, v107
	v_add_f16_e32 v103, v103, v106
	v_fma_f16 v106, v65, s15, v104
	v_mul_f16_e32 v107, 0x2fb7, v66
	v_fma_f16 v104, v65, s15, -v104
	v_mul_f16_e32 v62, 0x3770, v62
	v_add_f16_e32 v106, v106, v109
	v_fma_f16 v109, v61, s10, v107
	v_add_f16_e32 v104, v104, v108
	v_fma_f16 v107, v61, s16, v107
	v_fma_f16 v108, v65, s5, v62
	v_mul_f16_e32 v66, 0x3b15, v66
	v_fma_f16 v62, v65, s5, -v62
	v_add_f16_e32 v107, v107, v110
	v_fma_f16 v110, v61, s4, v66
	v_add_f16_e32 v23, v62, v23
	v_fma_f16 v61, v61, s7, v66
	v_add_f16_e32 v62, v58, v60
	v_sub_f16_e32 v58, v58, v60
	v_add_f16_e32 v36, v61, v36
	v_add_f16_e32 v61, v57, v59
	v_sub_f16_e32 v57, v57, v59
	v_mul_f16_e32 v59, 0xbbf1, v58
	v_fma_f16 v60, v61, s15, v59
	v_add_f16_e32 v60, v60, v64
	v_mul_f16_e32 v64, 0x2fb7, v62
	v_fma_f16 v59, v61, s15, -v59
	v_fma_f16 v65, v57, s16, v64
	v_add_f16_e32 v59, v59, v63
	v_fma_f16 v63, v57, s10, v64
	v_mul_f16_e32 v64, 0xb3a8, v58
	v_fma_f16 v66, v61, s24, v64
	v_fma_f16 v64, v61, s24, -v64
	v_add_f16_e32 v63, v63, v91
	v_mul_f16_e32 v91, 0xbbc4, v62
	v_add_f16_e32 v64, v64, v92
	v_mul_f16_e32 v92, 0x3b7b, v58
	v_add_f16_e32 v65, v65, v93
	v_add_f16_e32 v66, v66, v94
	v_fma_f16 v93, v57, s25, v91
	v_fma_f16 v91, v57, s23, v91
	v_fma_f16 v94, v61, s18, v92
	v_fma_f16 v92, v61, s18, -v92
	v_add_f16_e32 v91, v91, v95
	v_mul_f16_e32 v95, 0xb5ac, v62
	v_add_f16_e32 v92, v92, v96
	v_mul_f16_e32 v96, 0x3770, v58
	v_add_f16_e32 v93, v93, v97
	v_add_f16_e32 v94, v94, v98
	v_fma_f16 v97, v57, s17, v95
	v_fma_f16 v95, v57, s19, v95
	;; [unrolled: 10-line block ×3, first 2 shown]
	v_fma_f16 v102, v61, s11, v100
	v_fma_f16 v100, v61, s11, -v100
	v_mul_f16_e32 v58, 0xb94e, v58
	v_add_f16_e32 v99, v99, v103
	v_mul_f16_e32 v103, 0x388b, v62
	v_add_f16_e32 v100, v100, v104
	v_fma_f16 v104, v61, s21, v58
	v_mul_f16_e32 v62, 0xb9fd, v62
	v_fma_f16 v58, v61, s21, -v58
	v_add_f16_e32 v101, v101, v105
	v_add_f16_e32 v102, v102, v106
	v_fma_f16 v105, v57, s14, v103
	v_fma_f16 v103, v57, s6, v103
	;; [unrolled: 1-line block ×3, first 2 shown]
	v_add_f16_e32 v23, v58, v23
	v_fma_f16 v57, v57, s20, v62
	v_add_f16_e32 v58, v54, v56
	v_sub_f16_e32 v54, v54, v56
	v_add_f16_e32 v36, v57, v36
	v_add_f16_e32 v57, v53, v55
	v_sub_f16_e32 v53, v53, v55
	v_mul_f16_e32 v55, 0xbb7b, v54
	v_fma_f16 v56, v57, s18, v55
	v_add_f16_e32 v56, v56, v60
	v_mul_f16_e32 v60, 0xb5ac, v58
	v_fma_f16 v55, v57, s18, -v55
	v_fma_f16 v61, v53, s19, v60
	v_add_f16_e32 v55, v55, v59
	v_fma_f16 v59, v53, s17, v60
	v_mul_f16_e32 v60, 0x394e, v54
	v_fma_f16 v62, v57, s21, v60
	v_fma_f16 v60, v57, s21, -v60
	v_add_f16_e32 v59, v59, v63
	v_mul_f16_e32 v63, 0xb9fd, v58
	v_add_f16_e32 v60, v60, v64
	v_mul_f16_e32 v64, 0x3770, v54
	v_add_f16_e32 v61, v61, v65
	v_add_f16_e32 v62, v62, v66
	v_fma_f16 v65, v53, s20, v63
	v_fma_f16 v63, v53, s22, v63
	v_fma_f16 v66, v57, s5, v64
	v_fma_f16 v64, v57, s5, -v64
	v_add_f16_e32 v63, v63, v91
	v_mul_f16_e32 v91, 0x3b15, v58
	v_add_f16_e32 v64, v64, v92
	v_mul_f16_e32 v92, 0xbbf1, v54
	v_add_f16_e32 v65, v65, v93
	v_add_f16_e32 v66, v66, v94
	v_fma_f16 v93, v53, s4, v91
	v_fma_f16 v91, v53, s7, v91
	;; [unrolled: 10-line block ×3, first 2 shown]
	v_fma_f16 v98, v57, s24, v96
	v_fma_f16 v96, v57, s24, -v96
	v_mul_f16_e32 v54, 0x3a95, v54
	v_add_f16_e32 v95, v95, v99
	v_mul_f16_e32 v99, 0xbbc4, v58
	v_add_f16_e32 v96, v96, v100
	v_fma_f16 v100, v57, s11, v54
	v_mul_f16_e32 v58, 0x388b, v58
	v_fma_f16 v54, v57, s11, -v54
	v_add_f16_e32 v97, v97, v101
	v_add_f16_e32 v98, v98, v102
	v_fma_f16 v101, v53, s23, v99
	v_fma_f16 v99, v53, s25, v99
	;; [unrolled: 1-line block ×3, first 2 shown]
	v_add_f16_e32 v23, v54, v23
	v_fma_f16 v53, v53, s14, v58
	v_add_f16_e32 v54, v33, v35
	v_sub_f16_e32 v33, v33, v35
	v_add_f16_e32 v36, v53, v36
	v_add_f16_e32 v53, v31, v34
	v_sub_f16_e32 v31, v31, v34
	v_mul_f16_e32 v34, 0xb94e, v33
	v_fma_f16 v35, v53, s21, v34
	v_add_f16_e32 v35, v35, v56
	v_mul_f16_e32 v56, 0xb9fd, v54
	v_fma_f16 v34, v53, s21, -v34
	v_fma_f16 v57, v31, s22, v56
	v_add_f16_e32 v34, v34, v55
	v_fma_f16 v55, v31, s20, v56
	v_mul_f16_e32 v56, 0x3bf1, v33
	v_add_f16_e32 v55, v55, v59
	v_fma_f16 v58, v53, s15, v56
	v_mul_f16_e32 v59, 0x2fb7, v54
	v_fma_f16 v56, v53, s15, -v56
	v_add_f16_e32 v60, v56, v60
	v_fma_f16 v56, v31, s16, v59
	v_add_f16_e32 v57, v57, v61
	v_fma_f16 v61, v31, s10, v59
	v_add_f16_e32 v59, v56, v63
	v_mul_f16_e32 v56, 0xba95, v33
	v_add_f16_e32 v58, v58, v62
	v_fma_f16 v62, v53, s11, v56
	v_mul_f16_e32 v63, 0x388b, v54
	v_fma_f16 v56, v53, s11, -v56
	v_add_f16_e32 v64, v56, v64
	v_fma_f16 v56, v31, s6, v63
	v_add_f16_e32 v61, v61, v65
	v_fma_f16 v65, v31, s14, v63
	v_add_f16_e32 v63, v56, v91
	;; [unrolled: 10-line block ×3, first 2 shown]
	v_mul_f16_e32 v56, 0x3770, v33
	v_add_f16_e32 v108, v108, v112
	v_add_f16_e32 v103, v103, v107
	;; [unrolled: 1-line block ×3, first 2 shown]
	v_fma_f16 v94, v53, s5, v56
	v_mul_f16_e32 v95, 0x3b15, v54
	v_fma_f16 v56, v53, s5, -v56
	v_add_f16_e32 v109, v109, v111
	v_add_f16_e32 v110, v110, v113
	;; [unrolled: 1-line block ×5, first 2 shown]
	v_fma_f16 v56, v31, s7, v95
	v_mul_f16_e32 v33, 0xbb7b, v33
	v_add_f16_e32 v105, v105, v109
	v_add_f16_e32 v106, v106, v110
	;; [unrolled: 1-line block ×4, first 2 shown]
	v_fma_f16 v97, v31, s4, v95
	v_add_f16_e32 v95, v56, v99
	v_fma_f16 v56, v53, s18, v33
	v_mul_f16_e32 v54, 0xb5ac, v54
	v_fma_f16 v33, v53, s18, -v33
	v_add_f16_e32 v101, v101, v105
	v_add_f16_e32 v102, v102, v106
	;; [unrolled: 1-line block ×4, first 2 shown]
	v_fma_f16 v56, v31, s19, v54
	v_add_f16_e32 v100, v33, v23
	v_fma_f16 v23, v31, s17, v54
	v_sub_f16_e32 v105, v27, v30
	v_add_f16_e32 v97, v97, v101
	v_add_f16_e32 v99, v56, v102
	;; [unrolled: 1-line block ×4, first 2 shown]
	v_mul_f16_e32 v23, 0xb3a8, v105
	v_add_f16_e32 v103, v27, v30
	v_sub_f16_e32 v104, v24, v29
	v_fma_f16 v24, v102, s24, v23
	v_add_f16_e32 v27, v24, v35
	v_mul_f16_e32 v24, 0xbbc4, v103
	v_fma_f16 v23, v102, s24, -v23
	v_add_f16_e32 v54, v23, v34
	v_fma_f16 v23, v104, s23, v24
	v_fma_f16 v29, v104, s25, v24
	v_add_f16_e32 v56, v23, v55
	v_mul_f16_e32 v23, 0x3770, v105
	v_add_f16_e32 v29, v29, v57
	v_fma_f16 v24, v102, s5, v23
	v_mul_f16_e32 v57, 0x388b, v103
	v_add_f16_e32 v30, v24, v58
	v_fma_f16 v58, v104, s6, v57
	v_fma_f16 v57, v104, s14, v57
	v_add_f16_e32 v57, v57, v91
	v_mov_b32_e32 v91, 0x548
	v_cndmask_b32_e64 v91, 0, v91, s[2:3]
	v_add3_u32 v32, 0, v91, v32
	v_pack_b32_f16 v0, v0, v1
	v_pack_b32_f16 v1, v69, v71
	ds_write2_b32 v32, v0, v1 offset1:26
	v_pack_b32_f16 v0, v74, v75
	v_pack_b32_f16 v1, v77, v78
	v_mul_f16_e32 v24, 0x3b15, v103
	v_fma_f16 v23, v102, s5, -v23
	ds_write2_b32 v32, v0, v1 offset0:52 offset1:78
	v_pack_b32_f16 v0, v80, v82
	v_pack_b32_f16 v1, v83, v86
	v_add_f16_e32 v53, v23, v60
	v_fma_f16 v23, v104, s7, v24
	ds_write2_b32 v32, v0, v1 offset0:104 offset1:130
	v_pack_b32_f16 v0, v87, v88
	v_pack_b32_f16 v1, v89, v90
	v_add_f16_e32 v55, v23, v59
	v_mul_f16_e32 v23, 0xb94e, v105
	ds_write2_b32 v32, v0, v1 offset0:156 offset1:182
	v_pack_b32_f16 v0, v84, v85
	v_pack_b32_f16 v1, v79, v81
	v_fma_f16 v31, v104, s4, v24
	v_fma_f16 v24, v102, s21, v23
	ds_write2_b32 v32, v0, v1 offset0:208 offset1:234
	v_pack_b32_f16 v0, v73, v76
	v_pack_b32_f16 v1, v70, v72
	v_add_u32_e32 v69, 0x400, v32
	v_add_f16_e32 v33, v24, v62
	v_mul_f16_e32 v24, 0xb9fd, v103
	v_mul_f16_e32 v35, 0x3a95, v105
	ds_write2_b32 v69, v0, v1 offset0:4 offset1:30
	v_pack_b32_f16 v0, v67, v68
	v_mov_b32_e32 v1, 2
	v_add_f16_e32 v31, v31, v61
	v_fma_f16 v34, v104, s22, v24
	v_fma_f16 v36, v102, s11, v35
	v_mul_f16_e32 v60, 0xbb7b, v105
	v_mul_f16_e32 v61, 0xb5ac, v103
	ds_write_b32 v32, v0 offset:1248
	v_mul_u32_u24_e32 v0, 0x548, v28
	v_lshlrev_b32_sdwa v1, v1, v21 dst_sel:DWORD dst_unused:UNUSED_PAD src0_sel:DWORD src1_sel:BYTE_0
	v_add_f16_e32 v34, v34, v65
	v_fma_f16 v23, v102, s21, -v23
	v_fma_f16 v24, v104, s20, v24
	v_add_f16_e32 v36, v36, v66
	v_fma_f16 v59, v102, s18, v60
	v_fma_f16 v62, v104, s19, v61
	v_mul_f16_e32 v65, 0x3bf1, v105
	v_mul_f16_e32 v66, 0x2fb7, v103
	v_add3_u32 v0, 0, v0, v1
	v_pack_b32_f16 v1, v2, v3
	v_pack_b32_f16 v2, v27, v29
	v_add_f16_e32 v23, v23, v64
	v_add_f16_e32 v24, v24, v63
	;; [unrolled: 1-line block ×5, first 2 shown]
	v_fma_f16 v63, v102, s15, v65
	v_fma_f16 v64, v104, s10, v66
	v_fma_f16 v65, v102, s15, -v65
	v_fma_f16 v66, v104, s16, v66
	ds_write2_b32 v0, v1, v2 offset1:26
	v_pack_b32_f16 v1, v30, v31
	v_pack_b32_f16 v2, v33, v34
	v_fma_f16 v35, v102, s11, -v35
	v_fma_f16 v60, v102, s18, -v60
	v_fma_f16 v61, v104, s17, v61
	v_add_f16_e32 v63, v63, v98
	v_add_f16_e32 v64, v64, v99
	v_add_f16_e32 v65, v65, v100
	v_add_f16_e32 v66, v66, v101
	ds_write2_b32 v0, v1, v2 offset0:52 offset1:78
	v_pack_b32_f16 v1, v36, v58
	v_pack_b32_f16 v2, v59, v62
	v_add_f16_e32 v35, v35, v92
	v_add_f16_e32 v60, v60, v96
	;; [unrolled: 1-line block ×3, first 2 shown]
	ds_write2_b32 v0, v1, v2 offset0:104 offset1:130
	v_pack_b32_f16 v1, v63, v64
	v_pack_b32_f16 v2, v65, v66
	ds_write2_b32 v0, v1, v2 offset0:156 offset1:182
	v_pack_b32_f16 v1, v60, v61
	v_pack_b32_f16 v2, v35, v57
	;; [unrolled: 3-line block ×3, first 2 shown]
	v_add_u32_e32 v3, 0x400, v0
	ds_write2_b32 v3, v1, v2 offset0:4 offset1:30
	v_pack_b32_f16 v1, v54, v56
	ds_write_b32 v0, v1 offset:1248
	s_waitcnt lgkmcnt(0)
	; wave barrier
	s_waitcnt lgkmcnt(0)
	ds_read2_b32 v[35:36], v25 offset0:82 offset1:134
	ds_read2_b32 v[33:34], v44 offset0:164 offset1:216
	;; [unrolled: 1-line block ×6, first 2 shown]
	v_lshl_add_u32 v57, v13, 2, 0
	ds_read_b32 v62, v37
	ds_read_b32 v61, v41
	;; [unrolled: 1-line block ×4, first 2 shown]
	ds_read2_b32 v[23:24], v44 offset0:34 offset1:86
	ds_read2_b32 v[2:3], v46 offset0:116 offset1:168
	;; [unrolled: 1-line block ×3, first 2 shown]
	v_lshl_add_u32 v44, v15, 2, 0
	ds_read_b32 v60, v50
	ds_read_b32 v51, v44
	v_sub_u32_e32 v21, 0, v49
	v_sub_u32_e32 v46, 0, v47
	;; [unrolled: 1-line block ×3, first 2 shown]
	v_add_u32_e32 v43, v43, v21
                                        ; implicit-def: $vgpr49
                                        ; implicit-def: $vgpr47
                                        ; implicit-def: $vgpr50
                                        ; implicit-def: $vgpr48
	s_and_saveexec_b64 s[2:3], vcc
	s_cbranch_execz .LBB0_15
; %bb.14:
	ds_read_b32 v53, v43
	ds_read_b32 v54, v37 offset:2600
	ds_read_b32 v47, v37 offset:3952
	;; [unrolled: 1-line block ×3, first 2 shown]
	v_mov_b32_e32 v52, v19
	s_waitcnt lgkmcnt(3)
	v_lshrrev_b32_e32 v55, 16, v53
	s_waitcnt lgkmcnt(2)
	v_lshrrev_b32_e32 v56, 16, v54
	;; [unrolled: 2-line block ×4, first 2 shown]
.LBB0_15:
	s_or_b64 exec, exec, s[2:3]
	v_mul_u32_u24_e32 v21, 3, v4
	v_lshlrev_b32_e32 v21, 2, v21
	global_load_dwordx3 v[63:65], v21, s[8:9] offset:1344
	v_mul_i32_i24_e32 v21, 3, v8
	v_lshlrev_b64 v[66:67], 2, v[21:22]
	v_mul_i32_i24_e32 v21, 3, v20
	v_mov_b32_e32 v78, s9
	v_add_co_u32_e64 v66, s[2:3], s8, v66
	v_lshlrev_b64 v[69:70], 2, v[21:22]
	v_addc_co_u32_e64 v67, s[2:3], v78, v67, s[2:3]
	v_add_co_u32_e64 v69, s[2:3], s8, v69
	global_load_dwordx3 v[66:68], v[66:67], off offset:1344
	v_addc_co_u32_e64 v70, s[2:3], v78, v70, s[2:3]
	global_load_dwordx3 v[69:71], v[69:70], off offset:1344
	v_mul_i32_i24_e32 v21, 3, v13
	v_lshlrev_b64 v[72:73], 2, v[21:22]
	v_mul_i32_i24_e32 v21, 3, v17
	v_add_co_u32_e64 v72, s[2:3], s8, v72
	v_addc_co_u32_e64 v73, s[2:3], v78, v73, s[2:3]
	global_load_dwordx3 v[72:74], v[72:73], off offset:1344
	v_lshlrev_b64 v[75:76], 2, v[21:22]
	v_mul_i32_i24_e32 v21, 3, v15
	v_add_co_u32_e64 v75, s[2:3], s8, v75
	v_lshlrev_b64 v[21:22], 2, v[21:22]
	v_addc_co_u32_e64 v76, s[2:3], v78, v76, s[2:3]
	global_load_dwordx3 v[75:77], v[75:76], off offset:1344
	v_add_co_u32_e64 v21, s[2:3], s8, v21
	v_addc_co_u32_e64 v22, s[2:3], v78, v22, s[2:3]
	global_load_dwordx3 v[78:80], v[21:22], off offset:1344
	s_waitcnt lgkmcnt(13)
	v_lshrrev_b32_e32 v101, 16, v33
	v_lshrrev_b32_e32 v102, 16, v35
	s_waitcnt lgkmcnt(12)
	v_lshrrev_b32_e32 v97, 16, v32
	s_waitcnt lgkmcnt(11)
	;; [unrolled: 2-line block ×4, first 2 shown]
	v_lshrrev_b32_e32 v85, 16, v25
	v_lshrrev_b32_e32 v22, 16, v30
	;; [unrolled: 1-line block ×4, first 2 shown]
	s_waitcnt lgkmcnt(4)
	v_lshrrev_b32_e32 v89, 16, v23
	s_waitcnt lgkmcnt(3)
	v_lshrrev_b32_e32 v90, 16, v2
	;; [unrolled: 2-line block ×3, first 2 shown]
	v_lshrrev_b32_e32 v93, 16, v24
	v_lshrrev_b32_e32 v100, 16, v31
	;; [unrolled: 1-line block ×5, first 2 shown]
	s_waitcnt lgkmcnt(1)
	v_lshrrev_b32_e32 v83, 16, v60
	v_lshrrev_b32_e32 v88, 16, v58
	;; [unrolled: 1-line block ×5, first 2 shown]
	s_waitcnt lgkmcnt(0)
	v_lshrrev_b32_e32 v92, 16, v51
	s_waitcnt lgkmcnt(0)
	; wave barrier
	v_lshrrev_b32_e32 v21, 16, v59
	s_waitcnt vmcnt(5)
	v_mul_f16_sdwa v103, v63, v102 dst_sel:DWORD dst_unused:UNUSED_PAD src0_sel:WORD_1 src1_sel:DWORD
	v_mul_f16_sdwa v104, v63, v35 dst_sel:DWORD dst_unused:UNUSED_PAD src0_sel:WORD_1 src1_sel:DWORD
	;; [unrolled: 1-line block ×4, first 2 shown]
	v_fma_f16 v35, v63, v35, v103
	v_fma_f16 v63, v63, v102, -v104
	v_fma_f16 v33, v64, v33, v105
	v_mul_f16_sdwa v107, v65, v100 dst_sel:DWORD dst_unused:UNUSED_PAD src0_sel:WORD_1 src1_sel:DWORD
	v_mul_f16_sdwa v108, v65, v31 dst_sel:DWORD dst_unused:UNUSED_PAD src0_sel:WORD_1 src1_sel:DWORD
	v_fma_f16 v64, v64, v101, -v106
	v_fma_f16 v31, v65, v31, v107
	v_fma_f16 v65, v65, v100, -v108
	s_waitcnt vmcnt(4)
	v_mul_f16_sdwa v104, v68, v97 dst_sel:DWORD dst_unused:UNUSED_PAD src0_sel:WORD_1 src1_sel:DWORD
	v_mul_f16_sdwa v105, v68, v32 dst_sel:DWORD dst_unused:UNUSED_PAD src0_sel:WORD_1 src1_sel:DWORD
	v_fma_f16 v32, v68, v32, v104
	v_fma_f16 v68, v68, v97, -v105
	s_waitcnt vmcnt(3)
	v_mul_f16_sdwa v97, v69, v96 dst_sel:DWORD dst_unused:UNUSED_PAD src0_sel:WORD_1 src1_sel:DWORD
	v_fma_f16 v97, v69, v29, v97
	v_mul_f16_sdwa v29, v69, v29 dst_sel:DWORD dst_unused:UNUSED_PAD src0_sel:WORD_1 src1_sel:DWORD
	v_fma_f16 v29, v69, v96, -v29
	v_mul_f16_sdwa v69, v84, v70 dst_sel:DWORD dst_unused:UNUSED_PAD src0_sel:DWORD src1_sel:WORD_1
	v_fma_f16 v69, v27, v70, v69
	v_mul_f16_sdwa v27, v27, v70 dst_sel:DWORD dst_unused:UNUSED_PAD src0_sel:DWORD src1_sel:WORD_1
	v_fma_f16 v27, v84, v70, -v27
	v_mul_f16_sdwa v70, v85, v71 dst_sel:DWORD dst_unused:UNUSED_PAD src0_sel:DWORD src1_sel:WORD_1
	v_fma_f16 v70, v25, v71, v70
	v_mul_f16_sdwa v25, v25, v71 dst_sel:DWORD dst_unused:UNUSED_PAD src0_sel:DWORD src1_sel:WORD_1
	v_fma_f16 v25, v85, v71, -v25
	s_waitcnt vmcnt(2)
	v_mul_f16_sdwa v71, v22, v72 dst_sel:DWORD dst_unused:UNUSED_PAD src0_sel:DWORD src1_sel:WORD_1
	v_fma_f16 v71, v30, v72, v71
	v_mul_f16_sdwa v30, v30, v72 dst_sel:DWORD dst_unused:UNUSED_PAD src0_sel:DWORD src1_sel:WORD_1
	v_fma_f16 v22, v22, v72, -v30
	v_mul_f16_sdwa v30, v86, v73 dst_sel:DWORD dst_unused:UNUSED_PAD src0_sel:DWORD src1_sel:WORD_1
	v_mul_f16_sdwa v72, v87, v74 dst_sel:DWORD dst_unused:UNUSED_PAD src0_sel:DWORD src1_sel:WORD_1
	v_fma_f16 v30, v28, v73, v30
	v_mul_f16_sdwa v28, v28, v73 dst_sel:DWORD dst_unused:UNUSED_PAD src0_sel:DWORD src1_sel:WORD_1
	v_fma_f16 v72, v26, v74, v72
	v_mul_f16_sdwa v26, v26, v74 dst_sel:DWORD dst_unused:UNUSED_PAD src0_sel:DWORD src1_sel:WORD_1
	v_fma_f16 v28, v86, v73, -v28
	v_fma_f16 v26, v87, v74, -v26
	s_waitcnt vmcnt(1)
	v_mul_f16_sdwa v73, v89, v75 dst_sel:DWORD dst_unused:UNUSED_PAD src0_sel:DWORD src1_sel:WORD_1
	v_mul_f16_sdwa v74, v90, v76 dst_sel:DWORD dst_unused:UNUSED_PAD src0_sel:DWORD src1_sel:WORD_1
	v_fma_f16 v73, v23, v75, v73
	v_mul_f16_sdwa v23, v23, v75 dst_sel:DWORD dst_unused:UNUSED_PAD src0_sel:DWORD src1_sel:WORD_1
	v_fma_f16 v74, v2, v76, v74
	v_mul_f16_sdwa v2, v2, v76 dst_sel:DWORD dst_unused:UNUSED_PAD src0_sel:DWORD src1_sel:WORD_1
	v_fma_f16 v23, v89, v75, -v23
	v_fma_f16 v2, v90, v76, -v2
	v_mul_f16_sdwa v75, v91, v77 dst_sel:DWORD dst_unused:UNUSED_PAD src0_sel:DWORD src1_sel:WORD_1
	s_waitcnt vmcnt(0)
	v_mul_f16_sdwa v76, v93, v78 dst_sel:DWORD dst_unused:UNUSED_PAD src0_sel:DWORD src1_sel:WORD_1
	v_fma_f16 v75, v0, v77, v75
	v_mul_f16_sdwa v0, v0, v77 dst_sel:DWORD dst_unused:UNUSED_PAD src0_sel:DWORD src1_sel:WORD_1
	v_fma_f16 v76, v24, v78, v76
	v_mul_f16_sdwa v24, v24, v78 dst_sel:DWORD dst_unused:UNUSED_PAD src0_sel:DWORD src1_sel:WORD_1
	v_fma_f16 v0, v91, v77, -v0
	v_fma_f16 v24, v93, v78, -v24
	v_mul_f16_sdwa v77, v94, v79 dst_sel:DWORD dst_unused:UNUSED_PAD src0_sel:DWORD src1_sel:WORD_1
	v_mul_f16_sdwa v78, v95, v80 dst_sel:DWORD dst_unused:UNUSED_PAD src0_sel:DWORD src1_sel:WORD_1
	v_fma_f16 v77, v3, v79, v77
	v_mul_f16_sdwa v3, v3, v79 dst_sel:DWORD dst_unused:UNUSED_PAD src0_sel:DWORD src1_sel:WORD_1
	v_fma_f16 v78, v1, v80, v78
	v_mul_f16_sdwa v1, v1, v80 dst_sel:DWORD dst_unused:UNUSED_PAD src0_sel:DWORD src1_sel:WORD_1
	v_sub_f16_e32 v33, v62, v33
	v_sub_f16_e32 v64, v81, v64
	;; [unrolled: 1-line block ×7, first 2 shown]
	v_fma_f16 v3, v94, v79, -v3
	v_fma_f16 v1, v95, v80, -v1
	v_fma_f16 v62, v62, 2.0, -v33
	v_fma_f16 v79, v81, 2.0, -v64
	;; [unrolled: 1-line block ×7, first 2 shown]
	v_mul_f16_sdwa v100, v66, v99 dst_sel:DWORD dst_unused:UNUSED_PAD src0_sel:WORD_1 src1_sel:DWORD
	v_mul_f16_sdwa v101, v66, v36 dst_sel:DWORD dst_unused:UNUSED_PAD src0_sel:WORD_1 src1_sel:DWORD
	;; [unrolled: 1-line block ×4, first 2 shown]
	v_sub_f16_e32 v35, v62, v35
	v_sub_f16_e32 v63, v79, v63
	;; [unrolled: 1-line block ×5, first 2 shown]
	v_fma_f16 v36, v66, v36, v100
	v_fma_f16 v66, v66, v99, -v101
	v_fma_f16 v34, v67, v34, v102
	v_fma_f16 v67, v67, v98, -v103
	v_fma_f16 v62, v62, 2.0, -v35
	v_fma_f16 v79, v79, 2.0, -v63
	v_add_f16_e32 v65, v33, v65
	v_sub_f16_e32 v31, v64, v31
	v_fma_f16 v24, v24, 2.0, -v1
	v_add_f16_e32 v1, v23, v1
	v_fma_f16 v33, v33, 2.0, -v65
	v_fma_f16 v64, v64, 2.0, -v31
	v_sub_f16_e32 v34, v61, v34
	v_sub_f16_e32 v67, v82, v67
	;; [unrolled: 1-line block ×4, first 2 shown]
	v_fma_f16 v51, v51, 2.0, -v23
	v_fma_f16 v85, v23, 2.0, -v1
	v_pack_b32_f16 v23, v62, v79
	v_fma_f16 v61, v61, 2.0, -v34
	v_fma_f16 v80, v82, 2.0, -v67
	;; [unrolled: 1-line block ×4, first 2 shown]
	ds_write_b32 v37, v23
	v_pack_b32_f16 v23, v33, v64
	v_sub_f16_e32 v36, v61, v36
	v_sub_f16_e32 v66, v80, v66
	ds_write_b32 v37, v23 offset:1352
	v_pack_b32_f16 v23, v35, v63
	v_fma_f16 v61, v61, 2.0, -v36
	v_fma_f16 v80, v80, 2.0, -v66
	v_add_f16_e32 v68, v34, v68
	v_sub_f16_e32 v32, v67, v32
	ds_write_b32 v37, v23 offset:2704
	v_pack_b32_f16 v23, v65, v31
	v_fma_f16 v34, v34, 2.0, -v68
	v_fma_f16 v67, v67, 2.0, -v32
	v_sub_f16_e32 v69, v60, v69
	v_sub_f16_e32 v70, v97, v70
	;; [unrolled: 1-line block ×3, first 2 shown]
	ds_write_b32 v37, v23 offset:4056
	v_pack_b32_f16 v23, v61, v80
	v_fma_f16 v60, v60, 2.0, -v69
	v_fma_f16 v82, v97, 2.0, -v70
	;; [unrolled: 1-line block ×3, first 2 shown]
	ds_write_b32 v41, v23
	v_pack_b32_f16 v23, v34, v67
	v_sub_f16_e32 v82, v60, v82
	v_sub_f16_e32 v29, v81, v29
	ds_write_b32 v41, v23 offset:1352
	v_pack_b32_f16 v23, v36, v66
	v_fma_f16 v60, v60, 2.0, -v82
	v_fma_f16 v81, v81, 2.0, -v29
	v_add_f16_e32 v25, v69, v25
	v_sub_f16_e32 v70, v27, v70
	ds_write_b32 v41, v23 offset:2704
	v_pack_b32_f16 v23, v68, v32
	v_fma_f16 v69, v69, 2.0, -v25
	v_fma_f16 v27, v27, 2.0, -v70
	v_sub_f16_e32 v30, v59, v30
	v_sub_f16_e32 v28, v21, v28
	;; [unrolled: 1-line block ×4, first 2 shown]
	ds_write_b32 v41, v23 offset:4056
	v_add_u32_e32 v23, v14, v46
	v_pack_b32_f16 v14, v60, v81
	v_fma_f16 v59, v59, 2.0, -v30
	v_fma_f16 v21, v21, 2.0, -v28
	;; [unrolled: 1-line block ×4, first 2 shown]
	ds_write_b32 v23, v14
	v_pack_b32_f16 v14, v69, v27
	v_sub_f16_e32 v71, v59, v71
	v_sub_f16_e32 v22, v21, v22
	ds_write_b32 v23, v14 offset:1352
	v_pack_b32_f16 v14, v82, v29
	v_fma_f16 v59, v59, 2.0, -v71
	v_fma_f16 v21, v21, 2.0, -v22
	v_add_f16_e32 v26, v30, v26
	v_sub_f16_e32 v72, v28, v72
	ds_write_b32 v23, v14 offset:2704
	v_pack_b32_f16 v14, v25, v70
	v_fma_f16 v30, v30, 2.0, -v26
	v_fma_f16 v28, v28, 2.0, -v72
	v_sub_f16_e32 v74, v58, v74
	v_sub_f16_e32 v75, v73, v75
	;; [unrolled: 1-line block ×4, first 2 shown]
	ds_write_b32 v23, v14 offset:4056
	v_pack_b32_f16 v14, v59, v21
	v_fma_f16 v58, v58, 2.0, -v74
	v_fma_f16 v73, v73, 2.0, -v75
	v_add_f16_e32 v0, v74, v0
	v_sub_f16_e32 v75, v2, v75
	v_fma_f16 v77, v92, 2.0, -v3
	v_fma_f16 v76, v76, 2.0, -v78
	ds_write_b32 v57, v14
	v_pack_b32_f16 v14, v30, v28
	v_sub_f16_e32 v73, v58, v73
	v_fma_f16 v74, v74, 2.0, -v0
	v_fma_f16 v2, v2, 2.0, -v75
	v_sub_f16_e32 v76, v51, v76
	v_sub_f16_e32 v24, v77, v24
	ds_write_b32 v57, v14 offset:1352
	v_pack_b32_f16 v14, v71, v22
	v_fma_f16 v58, v58, 2.0, -v73
	v_fma_f16 v83, v83, 2.0, -v84
	;; [unrolled: 1-line block ×4, first 2 shown]
	v_sub_f16_e32 v78, v3, v78
	ds_write_b32 v57, v14 offset:2704
	v_pack_b32_f16 v14, v26, v72
	v_add_u32_e32 v22, v9, v45
	v_pack_b32_f16 v2, v74, v2
	v_pack_b32_f16 v0, v0, v75
	v_fma_f16 v3, v3, 2.0, -v78
	ds_write_b32 v57, v14 offset:4056
	v_pack_b32_f16 v9, v58, v83
	ds_write_b32 v22, v2 offset:1352
	v_pack_b32_f16 v2, v73, v84
	;; [unrolled: 2-line block ×3, first 2 shown]
	ds_write_b32 v22, v9
	ds_write_b32 v22, v2 offset:2704
	ds_write_b32 v44, v0
	v_pack_b32_f16 v0, v85, v3
	ds_write_b32 v44, v0 offset:1352
	v_pack_b32_f16 v0, v76, v24
	ds_write_b32 v44, v0 offset:2704
	;; [unrolled: 2-line block ×3, first 2 shown]
	s_and_saveexec_b64 s[2:3], vcc
	s_cbranch_execz .LBB0_17
; %bb.16:
	v_mul_i32_i24_e32 v0, 3, v52
	v_mov_b32_e32 v1, 0
	v_lshlrev_b64 v[0:1], 2, v[0:1]
	v_mov_b32_e32 v2, s9
	v_add_co_u32_e32 v0, vcc, s8, v0
	v_addc_co_u32_e32 v1, vcc, v2, v1, vcc
	global_load_dwordx3 v[0:2], v[0:1], off offset:1344
	s_waitcnt vmcnt(0)
	v_mul_f16_sdwa v3, v49, v1 dst_sel:DWORD dst_unused:UNUSED_PAD src0_sel:DWORD src1_sel:WORD_1
	v_mul_f16_sdwa v9, v54, v0 dst_sel:DWORD dst_unused:UNUSED_PAD src0_sel:DWORD src1_sel:WORD_1
	;; [unrolled: 1-line block ×6, first 2 shown]
	v_fma_f16 v3, v47, v1, v3
	v_fma_f16 v9, v56, v0, -v9
	v_fma_f16 v14, v50, v2, -v14
	;; [unrolled: 1-line block ×3, first 2 shown]
	v_fma_f16 v0, v54, v0, v24
	v_fma_f16 v2, v48, v2, v25
	v_sub_f16_e32 v3, v53, v3
	v_sub_f16_e32 v14, v9, v14
	;; [unrolled: 1-line block ×4, first 2 shown]
	v_add_f16_e32 v21, v3, v14
	v_sub_f16_e32 v24, v1, v2
	v_fma_f16 v25, v53, 2.0, -v3
	v_fma_f16 v0, v0, 2.0, -v2
	;; [unrolled: 1-line block ×6, first 2 shown]
	v_sub_f16_e32 v0, v25, v0
	v_sub_f16_e32 v9, v2, v9
	v_pack_b32_f16 v14, v21, v24
	v_fma_f16 v21, v25, 2.0, -v0
	v_fma_f16 v2, v2, 2.0, -v9
	v_pack_b32_f16 v1, v3, v1
	v_pack_b32_f16 v0, v0, v9
	;; [unrolled: 1-line block ×3, first 2 shown]
	ds_write_b32 v37, v1 offset:2600
	ds_write_b32 v37, v0 offset:3952
	;; [unrolled: 1-line block ×4, first 2 shown]
.LBB0_17:
	s_or_b64 exec, exec, s[2:3]
	s_waitcnt lgkmcnt(0)
	; wave barrier
	s_waitcnt lgkmcnt(0)
	ds_read_b32 v9, v37
	s_add_u32 s4, s8, 0x1518
	s_addc_u32 s5, s9, 0
	v_sub_u32_e32 v2, 0, v5
	v_cmp_ne_u32_e32 vcc, 0, v4
                                        ; implicit-def: $vgpr25
                                        ; implicit-def: $vgpr14
                                        ; implicit-def: $vgpr26
                                        ; implicit-def: $vgpr0_vgpr1
	s_and_saveexec_b64 s[2:3], vcc
	s_xor_b64 s[2:3], exec, s[2:3]
	s_cbranch_execz .LBB0_19
; %bb.18:
	v_mov_b32_e32 v5, 0
	v_lshlrev_b64 v[0:1], 2, v[4:5]
	v_mov_b32_e32 v3, s5
	v_add_co_u32_e32 v0, vcc, s4, v0
	v_addc_co_u32_e32 v1, vcc, v3, v1, vcc
	global_load_dword v0, v[0:1], off
	ds_read_b32 v1, v2 offset:5408
	s_waitcnt lgkmcnt(0)
	v_add_f16_sdwa v14, v1, v9 dst_sel:DWORD dst_unused:UNUSED_PAD src0_sel:WORD_1 src1_sel:WORD_1
	v_sub_f16_e32 v21, v9, v1
	v_add_f16_e32 v3, v1, v9
	v_sub_f16_sdwa v1, v9, v1 dst_sel:DWORD dst_unused:UNUSED_PAD src0_sel:WORD_1 src1_sel:WORD_1
	v_mul_f16_e32 v9, 0.5, v14
	v_mul_f16_e32 v14, 0.5, v21
	;; [unrolled: 1-line block ×3, first 2 shown]
	s_waitcnt vmcnt(0)
	v_lshrrev_b32_e32 v21, 16, v0
	v_mul_f16_e32 v24, v21, v14
	v_fma_f16 v25, v9, v21, v1
	v_fma_f16 v1, v9, v21, -v1
	v_fma_f16 v21, v3, 0.5, v24
	v_fma_f16 v26, -v0, v14, v25
	v_fma_f16 v3, v3, 0.5, -v24
	v_fma_f16 v25, -v0, v14, v1
	v_fma_f16 v1, v0, v9, v21
	v_fma_f16 v14, -v0, v9, v3
	ds_write_b16 v37, v1
	v_mov_b32_e32 v0, v4
	v_mov_b32_e32 v1, v5
                                        ; implicit-def: $vgpr9
.LBB0_19:
	s_or_saveexec_b64 s[2:3], s[2:3]
	v_sub_u32_e32 v24, 0, v16
	v_sub_u32_e32 v5, 0, v42
	;; [unrolled: 1-line block ×3, first 2 shown]
	s_xor_b64 exec, exec, s[2:3]
	s_cbranch_execz .LBB0_21
; %bb.20:
	v_mov_b32_e32 v26, 0
	ds_read_u16 v16, v26 offset:2706
	v_mov_b32_e32 v0, 0
	s_waitcnt lgkmcnt(1)
	v_add_f16_sdwa v18, v9, v9 dst_sel:DWORD dst_unused:UNUSED_PAD src0_sel:WORD_1 src1_sel:DWORD
	v_sub_f16_sdwa v14, v9, v9 dst_sel:DWORD dst_unused:UNUSED_PAD src0_sel:DWORD src1_sel:WORD_1
	v_mov_b32_e32 v1, 0
	s_waitcnt lgkmcnt(0)
	v_xor_b32_e32 v9, 0x8000, v16
	v_mov_b32_e32 v25, 0
	ds_write_b16 v37, v18
	ds_write_b16 v26, v9 offset:2706
.LBB0_21:
	s_or_b64 exec, exec, s[2:3]
	s_waitcnt lgkmcnt(0)
	v_mov_b32_e32 v9, 0
	v_lshlrev_b64 v[27:28], 2, v[8:9]
	v_mov_b32_e32 v8, s5
	v_add_co_u32_e32 v27, vcc, s4, v27
	v_addc_co_u32_e32 v28, vcc, v8, v28, vcc
	global_load_dword v8, v[27:28], off
	v_mov_b32_e32 v21, v9
	v_lshlrev_b64 v[20:21], 2, v[20:21]
	v_mov_b32_e32 v16, s5
	v_add_co_u32_e32 v20, vcc, s4, v20
	v_addc_co_u32_e32 v21, vcc, v16, v21, vcc
	global_load_dword v21, v[20:21], off
	s_mov_b32 s3, 0x5040100
	v_perm_b32 v25, v25, v14, s3
	v_mov_b32_e32 v14, v9
	v_lshlrev_b64 v[13:14], 2, v[13:14]
	ds_write_b16 v37, v26 offset:2
	v_mov_b32_e32 v26, s5
	v_add_co_u32_e32 v13, vcc, s4, v13
	v_addc_co_u32_e32 v14, vcc, v26, v14, vcc
	ds_write_b32 v2, v25 offset:5408
	global_load_dword v25, v[13:14], off
	v_lshlrev_b64 v[0:1], 2, v[0:1]
	v_mov_b32_e32 v18, v9
	v_mov_b32_e32 v16, v9
	v_mov_b32_e32 v20, v9
	v_mov_b32_e32 v30, s5
	v_lshlrev_b64 v[17:18], 2, v[17:18]
	v_lshlrev_b64 v[13:14], 2, v[15:16]
	;; [unrolled: 1-line block ×3, first 2 shown]
	v_add_co_u32_e32 v19, vcc, s4, v0
	v_addc_co_u32_e32 v20, vcc, v30, v1, vcc
	v_mov_b32_e32 v27, s5
	v_add_co_u32_e32 v17, vcc, s4, v17
	v_addc_co_u32_e32 v18, vcc, v27, v18, vcc
	v_mov_b32_e32 v28, s5
	;; [unrolled: 3-line block ×3, first 2 shown]
	v_add_co_u32_e32 v15, vcc, s4, v15
	ds_read_b32 v26, v41
	ds_read_b32 v30, v2 offset:5200
	v_addc_co_u32_e32 v16, vcc, v29, v16, vcc
	global_load_dword v27, v[17:18], off
	global_load_dword v28, v[13:14], off
	;; [unrolled: 1-line block ×3, first 2 shown]
	global_load_dword v31, v[19:20], off offset:1456
	global_load_dword v32, v[19:20], off offset:1872
	s_mov_b32 s2, 0xffff
	s_waitcnt lgkmcnt(0)
	v_pk_add_f16 v13, v26, v30 neg_lo:[0,1] neg_hi:[0,1]
	v_pk_add_f16 v14, v26, v30
	v_bfi_b32 v15, s2, v13, v14
	v_bfi_b32 v13, s2, v14, v13
	v_pk_mul_f16 v14, v15, 0.5 op_sel_hi:[1,0]
	v_pk_mul_f16 v13, v13, 0.5 op_sel_hi:[1,0]
	v_mov_b32_e32 v18, s5
	v_add_u32_e32 v5, v39, v5
	v_add_u32_e32 v3, v38, v3
	s_waitcnt vmcnt(7)
	v_pk_fma_f16 v15, v8, v14, v13 op_sel:[1,0,0]
	v_pk_mul_f16 v16, v8, v14 op_sel_hi:[0,1]
	v_pk_fma_f16 v17, v8, v14, v13 op_sel:[1,0,0] neg_lo:[1,0,0] neg_hi:[1,0,0]
	v_pk_fma_f16 v8, v8, v14, v13 op_sel:[1,0,0] neg_lo:[0,0,1] neg_hi:[0,0,1]
	v_pk_add_f16 v13, v15, v16 op_sel:[0,1] op_sel_hi:[1,0]
	v_pk_add_f16 v14, v15, v16 op_sel:[0,1] op_sel_hi:[1,0] neg_lo:[0,1] neg_hi:[0,1]
	v_pk_add_f16 v15, v17, v16 op_sel:[0,1] op_sel_hi:[1,0] neg_lo:[0,1] neg_hi:[0,1]
	;; [unrolled: 1-line block ×3, first 2 shown]
	v_bfi_b32 v13, s2, v13, v14
	v_bfi_b32 v8, s2, v15, v8
	ds_write_b32 v41, v13
	ds_write_b32 v2, v8 offset:5200
	ds_read_b32 v8, v23
	ds_read_b32 v13, v2 offset:4992
	s_waitcnt lgkmcnt(0)
	v_pk_add_f16 v14, v8, v13 neg_lo:[0,1] neg_hi:[0,1]
	v_pk_add_f16 v8, v8, v13
	v_bfi_b32 v13, s2, v14, v8
	v_bfi_b32 v8, s2, v8, v14
	v_pk_mul_f16 v13, v13, 0.5 op_sel_hi:[1,0]
	v_pk_mul_f16 v8, v8, 0.5 op_sel_hi:[1,0]
	s_waitcnt vmcnt(6)
	v_pk_fma_f16 v14, v21, v13, v8 op_sel:[1,0,0]
	v_pk_mul_f16 v15, v21, v13 op_sel_hi:[0,1]
	v_pk_fma_f16 v16, v21, v13, v8 op_sel:[1,0,0] neg_lo:[1,0,0] neg_hi:[1,0,0]
	v_pk_fma_f16 v8, v21, v13, v8 op_sel:[1,0,0] neg_lo:[0,0,1] neg_hi:[0,0,1]
	v_pk_add_f16 v13, v14, v15 op_sel:[0,1] op_sel_hi:[1,0]
	v_pk_add_f16 v14, v14, v15 op_sel:[0,1] op_sel_hi:[1,0] neg_lo:[0,1] neg_hi:[0,1]
	v_pk_add_f16 v16, v16, v15 op_sel:[0,1] op_sel_hi:[1,0] neg_lo:[0,1] neg_hi:[0,1]
	;; [unrolled: 1-line block ×3, first 2 shown]
	v_bfi_b32 v13, s2, v13, v14
	v_bfi_b32 v8, s2, v16, v8
	ds_write_b32 v23, v13
	ds_write_b32 v2, v8 offset:4992
	ds_read_b32 v8, v57
	ds_read_b32 v13, v2 offset:4784
	s_waitcnt lgkmcnt(0)
	v_pk_add_f16 v14, v8, v13 neg_lo:[0,1] neg_hi:[0,1]
	v_pk_add_f16 v8, v8, v13
	v_bfi_b32 v13, s2, v14, v8
	v_bfi_b32 v8, s2, v8, v14
	v_pk_mul_f16 v13, v13, 0.5 op_sel_hi:[1,0]
	v_pk_mul_f16 v8, v8, 0.5 op_sel_hi:[1,0]
	s_waitcnt vmcnt(5)
	v_pk_fma_f16 v14, v25, v13, v8 op_sel:[1,0,0]
	v_pk_mul_f16 v15, v25, v13 op_sel_hi:[0,1]
	v_pk_add_f16 v16, v14, v15 op_sel:[0,1] op_sel_hi:[1,0]
	v_pk_add_f16 v14, v14, v15 op_sel:[0,1] op_sel_hi:[1,0] neg_lo:[0,1] neg_hi:[0,1]
	v_bfi_b32 v14, s2, v16, v14
	ds_write_b32 v57, v14
	v_pk_fma_f16 v14, v25, v13, v8 op_sel:[1,0,0] neg_lo:[1,0,0] neg_hi:[1,0,0]
	v_pk_fma_f16 v8, v25, v13, v8 op_sel:[1,0,0] neg_lo:[0,0,1] neg_hi:[0,0,1]
	v_pk_add_f16 v14, v14, v15 op_sel:[0,1] op_sel_hi:[1,0] neg_lo:[0,1] neg_hi:[0,1]
	v_pk_add_f16 v8, v8, v15 op_sel:[0,1] op_sel_hi:[1,0] neg_lo:[0,1] neg_hi:[0,1]
	v_bfi_b32 v8, s2, v14, v8
	ds_write_b32 v2, v8 offset:4784
	ds_read_b32 v8, v22
	ds_read_b32 v13, v2 offset:4576
	s_waitcnt lgkmcnt(0)
	v_pk_add_f16 v14, v8, v13 neg_lo:[0,1] neg_hi:[0,1]
	v_pk_add_f16 v8, v8, v13
	v_bfi_b32 v13, s2, v14, v8
	v_bfi_b32 v8, s2, v8, v14
	v_pk_mul_f16 v13, v13, 0.5 op_sel_hi:[1,0]
	v_pk_mul_f16 v8, v8, 0.5 op_sel_hi:[1,0]
	s_waitcnt vmcnt(4)
	v_pk_fma_f16 v14, v27, v13, v8 op_sel:[1,0,0]
	v_pk_mul_f16 v15, v27, v13 op_sel_hi:[0,1]
	v_pk_add_f16 v16, v14, v15 op_sel:[0,1] op_sel_hi:[1,0]
	v_pk_add_f16 v14, v14, v15 op_sel:[0,1] op_sel_hi:[1,0] neg_lo:[0,1] neg_hi:[0,1]
	v_bfi_b32 v14, s2, v16, v14
	ds_write_b32 v22, v14
	v_pk_fma_f16 v14, v27, v13, v8 op_sel:[1,0,0] neg_lo:[1,0,0] neg_hi:[1,0,0]
	v_pk_fma_f16 v8, v27, v13, v8 op_sel:[1,0,0] neg_lo:[0,0,1] neg_hi:[0,0,1]
	v_pk_add_f16 v14, v14, v15 op_sel:[0,1] op_sel_hi:[1,0] neg_lo:[0,1] neg_hi:[0,1]
	v_pk_add_f16 v8, v8, v15 op_sel:[0,1] op_sel_hi:[1,0] neg_lo:[0,1] neg_hi:[0,1]
	v_bfi_b32 v8, s2, v14, v8
	ds_write_b32 v2, v8 offset:4576
	ds_read_b32 v8, v44
	ds_read_b32 v13, v2 offset:4368
	s_waitcnt lgkmcnt(0)
	v_pk_add_f16 v14, v8, v13 neg_lo:[0,1] neg_hi:[0,1]
	v_pk_add_f16 v8, v8, v13
	v_bfi_b32 v13, s2, v14, v8
	v_bfi_b32 v8, s2, v8, v14
	v_pk_mul_f16 v14, v13, 0.5 op_sel_hi:[1,0]
	v_mov_b32_e32 v13, v9
	v_lshlrev_b64 v[12:13], 2, v[12:13]
	v_pk_mul_f16 v8, v8, 0.5 op_sel_hi:[1,0]
	v_add_co_u32_e32 v12, vcc, s4, v12
	v_addc_co_u32_e32 v13, vcc, v18, v13, vcc
	global_load_dword v13, v[12:13], off
	s_waitcnt vmcnt(4)
	v_pk_fma_f16 v15, v28, v14, v8 op_sel:[1,0,0]
	v_pk_mul_f16 v16, v28, v14 op_sel_hi:[0,1]
	v_pk_add_f16 v17, v15, v16 op_sel:[0,1] op_sel_hi:[1,0]
	v_pk_add_f16 v12, v15, v16 op_sel:[0,1] op_sel_hi:[1,0] neg_lo:[0,1] neg_hi:[0,1]
	v_bfi_b32 v12, s2, v17, v12
	ds_write_b32 v44, v12
	v_pk_fma_f16 v12, v28, v14, v8 op_sel:[1,0,0] neg_lo:[1,0,0] neg_hi:[1,0,0]
	v_pk_fma_f16 v8, v28, v14, v8 op_sel:[1,0,0] neg_lo:[0,0,1] neg_hi:[0,0,1]
	v_pk_add_f16 v12, v12, v16 op_sel:[0,1] op_sel_hi:[1,0] neg_lo:[0,1] neg_hi:[0,1]
	v_pk_add_f16 v8, v8, v16 op_sel:[0,1] op_sel_hi:[1,0] neg_lo:[0,1] neg_hi:[0,1]
	v_bfi_b32 v8, s2, v12, v8
	ds_write_b32 v2, v8 offset:4368
	ds_read_b32 v8, v43
	ds_read_b32 v12, v2 offset:4160
	s_waitcnt lgkmcnt(0)
	v_pk_add_f16 v14, v8, v12 neg_lo:[0,1] neg_hi:[0,1]
	v_pk_add_f16 v8, v8, v12
	v_bfi_b32 v12, s2, v14, v8
	v_bfi_b32 v8, s2, v8, v14
	v_pk_mul_f16 v12, v12, 0.5 op_sel_hi:[1,0]
	v_pk_mul_f16 v8, v8, 0.5 op_sel_hi:[1,0]
	s_waitcnt vmcnt(3)
	v_pk_fma_f16 v14, v29, v12, v8 op_sel:[1,0,0]
	v_pk_mul_f16 v15, v29, v12 op_sel_hi:[0,1]
	v_pk_add_f16 v16, v14, v15 op_sel:[0,1] op_sel_hi:[1,0]
	v_pk_add_f16 v14, v14, v15 op_sel:[0,1] op_sel_hi:[1,0] neg_lo:[0,1] neg_hi:[0,1]
	v_bfi_b32 v14, s2, v16, v14
	ds_write_b32 v43, v14
	v_pk_fma_f16 v14, v29, v12, v8 op_sel:[1,0,0] neg_lo:[1,0,0] neg_hi:[1,0,0]
	v_pk_fma_f16 v8, v29, v12, v8 op_sel:[1,0,0] neg_lo:[0,0,1] neg_hi:[0,0,1]
	v_pk_add_f16 v14, v14, v15 op_sel:[0,1] op_sel_hi:[1,0] neg_lo:[0,1] neg_hi:[0,1]
	v_pk_add_f16 v8, v8, v15 op_sel:[0,1] op_sel_hi:[1,0] neg_lo:[0,1] neg_hi:[0,1]
	v_bfi_b32 v8, s2, v14, v8
	ds_write_b32 v2, v8 offset:4160
	ds_read_b32 v8, v37 offset:1456
	ds_read_b32 v12, v2 offset:3952
	s_waitcnt lgkmcnt(0)
	v_pk_add_f16 v14, v8, v12 neg_lo:[0,1] neg_hi:[0,1]
	v_pk_add_f16 v8, v8, v12
	v_bfi_b32 v12, s2, v14, v8
	v_bfi_b32 v8, s2, v8, v14
	v_pk_mul_f16 v14, v12, 0.5 op_sel_hi:[1,0]
	v_pk_mul_f16 v8, v8, 0.5 op_sel_hi:[1,0]
	s_waitcnt vmcnt(2)
	v_pk_fma_f16 v12, v31, v14, v8 op_sel:[1,0,0]
	v_pk_mul_f16 v15, v31, v14 op_sel_hi:[0,1]
	v_pk_add_f16 v16, v12, v15 op_sel:[0,1] op_sel_hi:[1,0]
	v_pk_add_f16 v17, v12, v15 op_sel:[0,1] op_sel_hi:[1,0] neg_lo:[0,1] neg_hi:[0,1]
	v_mov_b32_e32 v12, v9
	v_lshlrev_b64 v[11:12], 2, v[11:12]
	v_add_co_u32_e32 v11, vcc, s4, v11
	v_addc_co_u32_e32 v12, vcc, v18, v12, vcc
	global_load_dword v12, v[11:12], off
	v_bfi_b32 v11, s2, v16, v17
	ds_write_b32 v37, v11 offset:1456
	v_pk_fma_f16 v11, v31, v14, v8 op_sel:[1,0,0] neg_lo:[1,0,0] neg_hi:[1,0,0]
	v_pk_fma_f16 v8, v31, v14, v8 op_sel:[1,0,0] neg_lo:[0,0,1] neg_hi:[0,0,1]
	v_pk_add_f16 v11, v11, v15 op_sel:[0,1] op_sel_hi:[1,0] neg_lo:[0,1] neg_hi:[0,1]
	v_pk_add_f16 v8, v8, v15 op_sel:[0,1] op_sel_hi:[1,0] neg_lo:[0,1] neg_hi:[0,1]
	v_bfi_b32 v8, s2, v11, v8
	ds_write_b32 v2, v8 offset:3952
	v_add_u32_e32 v8, v40, v24
	ds_read_b32 v11, v8
	ds_read_b32 v14, v2 offset:3744
	s_waitcnt lgkmcnt(0)
	v_pk_add_f16 v15, v11, v14 neg_lo:[0,1] neg_hi:[0,1]
	v_pk_add_f16 v11, v11, v14
	v_bfi_b32 v14, s2, v15, v11
	v_bfi_b32 v11, s2, v11, v15
	global_load_dword v15, v[19:20], off offset:2288
	v_pk_mul_f16 v14, v14, 0.5 op_sel_hi:[1,0]
	v_pk_mul_f16 v11, v11, 0.5 op_sel_hi:[1,0]
	s_waitcnt vmcnt(2)
	v_pk_fma_f16 v16, v13, v14, v11 op_sel:[1,0,0]
	v_pk_mul_f16 v17, v13, v14 op_sel_hi:[0,1]
	v_pk_add_f16 v18, v16, v17 op_sel:[0,1] op_sel_hi:[1,0]
	v_pk_add_f16 v16, v16, v17 op_sel:[0,1] op_sel_hi:[1,0] neg_lo:[0,1] neg_hi:[0,1]
	v_bfi_b32 v16, s2, v18, v16
	ds_write_b32 v8, v16
	v_pk_fma_f16 v8, v13, v14, v11 op_sel:[1,0,0] neg_lo:[1,0,0] neg_hi:[1,0,0]
	v_pk_fma_f16 v11, v13, v14, v11 op_sel:[1,0,0] neg_lo:[0,0,1] neg_hi:[0,0,1]
	v_pk_add_f16 v8, v8, v17 op_sel:[0,1] op_sel_hi:[1,0] neg_lo:[0,1] neg_hi:[0,1]
	v_pk_add_f16 v11, v11, v17 op_sel:[0,1] op_sel_hi:[1,0] neg_lo:[0,1] neg_hi:[0,1]
	v_bfi_b32 v8, s2, v8, v11
	v_mov_b32_e32 v11, v9
	ds_write_b32 v2, v8 offset:3744
	v_lshlrev_b64 v[8:9], 2, v[10:11]
	v_mov_b32_e32 v10, s5
	v_add_co_u32_e32 v8, vcc, s4, v8
	v_addc_co_u32_e32 v9, vcc, v10, v9, vcc
	ds_read_b32 v13, v37 offset:1872
	ds_read_b32 v14, v2 offset:3536
	global_load_dword v8, v[8:9], off
	s_waitcnt lgkmcnt(0)
	v_pk_add_f16 v16, v13, v14 neg_lo:[0,1] neg_hi:[0,1]
	v_pk_add_f16 v9, v13, v14
	v_bfi_b32 v10, s2, v16, v9
	v_bfi_b32 v9, s2, v9, v16
	v_pk_mul_f16 v10, v10, 0.5 op_sel_hi:[1,0]
	v_pk_mul_f16 v9, v9, 0.5 op_sel_hi:[1,0]
	v_pk_fma_f16 v11, v32, v10, v9 op_sel:[1,0,0]
	v_pk_mul_f16 v13, v32, v10 op_sel_hi:[0,1]
	v_pk_add_f16 v14, v11, v13 op_sel:[0,1] op_sel_hi:[1,0]
	v_pk_add_f16 v11, v11, v13 op_sel:[0,1] op_sel_hi:[1,0] neg_lo:[0,1] neg_hi:[0,1]
	v_bfi_b32 v11, s2, v14, v11
	ds_write_b32 v37, v11 offset:1872
	v_pk_fma_f16 v11, v32, v10, v9 op_sel:[1,0,0] neg_lo:[1,0,0] neg_hi:[1,0,0]
	v_pk_fma_f16 v9, v32, v10, v9 op_sel:[1,0,0] neg_lo:[0,0,1] neg_hi:[0,0,1]
	v_pk_add_f16 v11, v11, v13 op_sel:[0,1] op_sel_hi:[1,0] neg_lo:[0,1] neg_hi:[0,1]
	v_pk_add_f16 v9, v9, v13 op_sel:[0,1] op_sel_hi:[1,0] neg_lo:[0,1] neg_hi:[0,1]
	v_bfi_b32 v9, s2, v11, v9
	ds_write_b32 v2, v9 offset:3536
	ds_read_b32 v9, v5
	ds_read_b32 v10, v2 offset:3328
	s_waitcnt lgkmcnt(0)
	v_pk_add_f16 v11, v9, v10 neg_lo:[0,1] neg_hi:[0,1]
	v_pk_add_f16 v9, v9, v10
	v_bfi_b32 v10, s2, v11, v9
	v_bfi_b32 v9, s2, v9, v11
	v_pk_mul_f16 v10, v10, 0.5 op_sel_hi:[1,0]
	v_pk_mul_f16 v9, v9, 0.5 op_sel_hi:[1,0]
	s_waitcnt vmcnt(2)
	v_pk_fma_f16 v11, v12, v10, v9 op_sel:[1,0,0]
	v_pk_mul_f16 v13, v12, v10 op_sel_hi:[0,1]
	v_pk_add_f16 v14, v11, v13 op_sel:[0,1] op_sel_hi:[1,0]
	v_pk_add_f16 v11, v11, v13 op_sel:[0,1] op_sel_hi:[1,0] neg_lo:[0,1] neg_hi:[0,1]
	v_bfi_b32 v11, s2, v14, v11
	ds_write_b32 v5, v11
	v_pk_fma_f16 v5, v12, v10, v9 op_sel:[1,0,0] neg_lo:[1,0,0] neg_hi:[1,0,0]
	v_pk_fma_f16 v9, v12, v10, v9 op_sel:[1,0,0] neg_lo:[0,0,1] neg_hi:[0,0,1]
	v_pk_add_f16 v5, v5, v13 op_sel:[0,1] op_sel_hi:[1,0] neg_lo:[0,1] neg_hi:[0,1]
	v_pk_add_f16 v9, v9, v13 op_sel:[0,1] op_sel_hi:[1,0] neg_lo:[0,1] neg_hi:[0,1]
	v_bfi_b32 v5, s2, v5, v9
	ds_write_b32 v2, v5 offset:3328
	ds_read_b32 v5, v37 offset:2288
	ds_read_b32 v9, v2 offset:3120
	s_waitcnt lgkmcnt(0)
	v_pk_add_f16 v10, v5, v9 neg_lo:[0,1] neg_hi:[0,1]
	v_pk_add_f16 v5, v5, v9
	v_bfi_b32 v9, s2, v10, v5
	v_bfi_b32 v5, s2, v5, v10
	v_pk_mul_f16 v9, v9, 0.5 op_sel_hi:[1,0]
	v_pk_mul_f16 v5, v5, 0.5 op_sel_hi:[1,0]
	s_waitcnt vmcnt(1)
	v_pk_fma_f16 v10, v15, v9, v5 op_sel:[1,0,0]
	v_pk_mul_f16 v11, v15, v9 op_sel_hi:[0,1]
	v_pk_add_f16 v12, v10, v11 op_sel:[0,1] op_sel_hi:[1,0]
	v_pk_add_f16 v10, v10, v11 op_sel:[0,1] op_sel_hi:[1,0] neg_lo:[0,1] neg_hi:[0,1]
	v_bfi_b32 v10, s2, v12, v10
	ds_write_b32 v37, v10 offset:2288
	v_pk_fma_f16 v10, v15, v9, v5 op_sel:[1,0,0] neg_lo:[1,0,0] neg_hi:[1,0,0]
	v_pk_fma_f16 v5, v15, v9, v5 op_sel:[1,0,0] neg_lo:[0,0,1] neg_hi:[0,0,1]
	v_pk_add_f16 v10, v10, v11 op_sel:[0,1] op_sel_hi:[1,0] neg_lo:[0,1] neg_hi:[0,1]
	v_pk_add_f16 v5, v5, v11 op_sel:[0,1] op_sel_hi:[1,0] neg_lo:[0,1] neg_hi:[0,1]
	v_bfi_b32 v5, s2, v10, v5
	ds_write_b32 v2, v5 offset:3120
	ds_read_b32 v5, v3
	ds_read_b32 v9, v2 offset:2912
	s_waitcnt lgkmcnt(0)
	v_pk_add_f16 v10, v5, v9 neg_lo:[0,1] neg_hi:[0,1]
	v_pk_add_f16 v5, v5, v9
	v_bfi_b32 v9, s2, v10, v5
	v_bfi_b32 v5, s2, v5, v10
	v_pk_mul_f16 v9, v9, 0.5 op_sel_hi:[1,0]
	v_pk_mul_f16 v5, v5, 0.5 op_sel_hi:[1,0]
	s_waitcnt vmcnt(0)
	v_pk_fma_f16 v10, v8, v9, v5 op_sel:[1,0,0]
	v_pk_mul_f16 v11, v8, v9 op_sel_hi:[0,1]
	v_pk_add_f16 v12, v10, v11 op_sel:[0,1] op_sel_hi:[1,0]
	v_pk_add_f16 v10, v10, v11 op_sel:[0,1] op_sel_hi:[1,0] neg_lo:[0,1] neg_hi:[0,1]
	v_bfi_b32 v10, s2, v12, v10
	ds_write_b32 v3, v10
	v_pk_fma_f16 v3, v8, v9, v5 op_sel:[1,0,0] neg_lo:[1,0,0] neg_hi:[1,0,0]
	v_pk_fma_f16 v5, v8, v9, v5 op_sel:[1,0,0] neg_lo:[0,0,1] neg_hi:[0,0,1]
	v_pk_add_f16 v3, v3, v11 op_sel:[0,1] op_sel_hi:[1,0] neg_lo:[0,1] neg_hi:[0,1]
	v_pk_add_f16 v5, v5, v11 op_sel:[0,1] op_sel_hi:[1,0] neg_lo:[0,1] neg_hi:[0,1]
	v_bfi_b32 v3, s2, v3, v5
	ds_write_b32 v2, v3 offset:2912
	s_waitcnt lgkmcnt(0)
	; wave barrier
	s_waitcnt lgkmcnt(0)
	s_and_saveexec_b64 s[2:3], s[0:1]
	s_cbranch_execz .LBB0_24
; %bb.22:
	ds_read2_b32 v[8:9], v37 offset1:52
	v_mov_b32_e32 v2, s13
	v_add_co_u32_e32 v3, vcc, s12, v6
	v_addc_co_u32_e32 v2, vcc, v2, v7, vcc
	v_add_co_u32_e32 v0, vcc, v3, v0
	v_addc_co_u32_e32 v1, vcc, v2, v1, vcc
	s_waitcnt lgkmcnt(0)
	global_store_dword v[0:1], v8, off
	global_store_dword v[0:1], v9, off offset:208
	ds_read2_b32 v[5:6], v37 offset0:104 offset1:156
	v_add_u32_e32 v7, 0x200, v37
	ds_read2_b32 v[7:8], v7 offset0:80 offset1:132
	v_add_u32_e32 v11, 0x400, v37
	ds_read2_b32 v[9:10], v11 offset0:56 offset1:108
	s_waitcnt lgkmcnt(2)
	global_store_dword v[0:1], v5, off offset:416
	global_store_dword v[0:1], v6, off offset:624
	s_waitcnt lgkmcnt(1)
	global_store_dword v[0:1], v7, off offset:832
	global_store_dword v[0:1], v8, off offset:1040
	s_waitcnt lgkmcnt(0)
	global_store_dword v[0:1], v9, off offset:1248
	ds_read2_b32 v[5:6], v11 offset0:160 offset1:212
	v_add_u32_e32 v9, 0x800, v37
	ds_read2_b32 v[7:8], v9 offset0:8 offset1:60
	global_store_dword v[0:1], v10, off offset:1456
	ds_read2_b32 v[9:10], v9 offset0:112 offset1:164
	s_waitcnt lgkmcnt(2)
	global_store_dword v[0:1], v5, off offset:1664
	global_store_dword v[0:1], v6, off offset:1872
	s_waitcnt lgkmcnt(1)
	global_store_dword v[0:1], v7, off offset:2080
	global_store_dword v[0:1], v8, off offset:2288
	s_waitcnt lgkmcnt(0)
	global_store_dword v[0:1], v9, off offset:2496
	v_add_u32_e32 v5, 0xa00, v37
	ds_read2_b32 v[5:6], v5 offset0:88 offset1:140
	v_add_u32_e32 v9, 0xc00, v37
	ds_read2_b32 v[7:8], v9 offset0:64 offset1:116
	global_store_dword v[0:1], v10, off offset:2704
	ds_read2_b32 v[9:10], v9 offset0:168 offset1:220
	s_waitcnt lgkmcnt(2)
	global_store_dword v[0:1], v5, off offset:2912
	global_store_dword v[0:1], v6, off offset:3120
	s_waitcnt lgkmcnt(1)
	global_store_dword v[0:1], v7, off offset:3328
	global_store_dword v[0:1], v8, off offset:3536
	;; [unrolled: 3-line block ×3, first 2 shown]
	v_add_u32_e32 v7, 0x1000, v37
	ds_read2_b32 v[5:6], v7 offset0:16 offset1:68
	s_movk_i32 s0, 0x1000
	v_add_co_u32_e32 v0, vcc, s0, v0
	ds_read2_b32 v[7:8], v7 offset0:120 offset1:172
	v_addc_co_u32_e32 v1, vcc, 0, v1, vcc
	v_add_u32_e32 v9, 0x1200, v37
	ds_read2_b32 v[9:10], v9 offset0:96 offset1:148
	v_cmp_eq_u32_e32 vcc, 51, v4
	s_waitcnt lgkmcnt(2)
	global_store_dword v[0:1], v5, off offset:64
	global_store_dword v[0:1], v6, off offset:272
	s_waitcnt lgkmcnt(1)
	global_store_dword v[0:1], v7, off offset:480
	global_store_dword v[0:1], v8, off offset:688
	;; [unrolled: 3-line block ×3, first 2 shown]
	s_and_b64 exec, exec, vcc
	s_cbranch_execz .LBB0_24
; %bb.23:
	v_mov_b32_e32 v0, 0
	ds_read_b32 v4, v0 offset:5408
	v_add_co_u32_e32 v0, vcc, 0x1000, v3
	v_addc_co_u32_e32 v1, vcc, 0, v2, vcc
	s_waitcnt lgkmcnt(0)
	global_store_dword v[0:1], v4, off offset:1312
.LBB0_24:
	s_endpgm
	.section	.rodata,"a",@progbits
	.p2align	6, 0x0
	.amdhsa_kernel fft_rtc_back_len1352_factors_2_13_13_4_wgs_52_tpt_52_halfLds_half_ip_CI_unitstride_sbrr_R2C_dirReg
		.amdhsa_group_segment_fixed_size 0
		.amdhsa_private_segment_fixed_size 0
		.amdhsa_kernarg_size 88
		.amdhsa_user_sgpr_count 6
		.amdhsa_user_sgpr_private_segment_buffer 1
		.amdhsa_user_sgpr_dispatch_ptr 0
		.amdhsa_user_sgpr_queue_ptr 0
		.amdhsa_user_sgpr_kernarg_segment_ptr 1
		.amdhsa_user_sgpr_dispatch_id 0
		.amdhsa_user_sgpr_flat_scratch_init 0
		.amdhsa_user_sgpr_private_segment_size 0
		.amdhsa_uses_dynamic_stack 0
		.amdhsa_system_sgpr_private_segment_wavefront_offset 0
		.amdhsa_system_sgpr_workgroup_id_x 1
		.amdhsa_system_sgpr_workgroup_id_y 0
		.amdhsa_system_sgpr_workgroup_id_z 0
		.amdhsa_system_sgpr_workgroup_info 0
		.amdhsa_system_vgpr_workitem_id 0
		.amdhsa_next_free_vgpr 120
		.amdhsa_next_free_sgpr 26
		.amdhsa_reserve_vcc 1
		.amdhsa_reserve_flat_scratch 0
		.amdhsa_float_round_mode_32 0
		.amdhsa_float_round_mode_16_64 0
		.amdhsa_float_denorm_mode_32 3
		.amdhsa_float_denorm_mode_16_64 3
		.amdhsa_dx10_clamp 1
		.amdhsa_ieee_mode 1
		.amdhsa_fp16_overflow 0
		.amdhsa_exception_fp_ieee_invalid_op 0
		.amdhsa_exception_fp_denorm_src 0
		.amdhsa_exception_fp_ieee_div_zero 0
		.amdhsa_exception_fp_ieee_overflow 0
		.amdhsa_exception_fp_ieee_underflow 0
		.amdhsa_exception_fp_ieee_inexact 0
		.amdhsa_exception_int_div_zero 0
	.end_amdhsa_kernel
	.text
.Lfunc_end0:
	.size	fft_rtc_back_len1352_factors_2_13_13_4_wgs_52_tpt_52_halfLds_half_ip_CI_unitstride_sbrr_R2C_dirReg, .Lfunc_end0-fft_rtc_back_len1352_factors_2_13_13_4_wgs_52_tpt_52_halfLds_half_ip_CI_unitstride_sbrr_R2C_dirReg
                                        ; -- End function
	.section	.AMDGPU.csdata,"",@progbits
; Kernel info:
; codeLenInByte = 21468
; NumSgprs: 30
; NumVgprs: 120
; ScratchSize: 0
; MemoryBound: 0
; FloatMode: 240
; IeeeMode: 1
; LDSByteSize: 0 bytes/workgroup (compile time only)
; SGPRBlocks: 3
; VGPRBlocks: 29
; NumSGPRsForWavesPerEU: 30
; NumVGPRsForWavesPerEU: 120
; Occupancy: 2
; WaveLimiterHint : 1
; COMPUTE_PGM_RSRC2:SCRATCH_EN: 0
; COMPUTE_PGM_RSRC2:USER_SGPR: 6
; COMPUTE_PGM_RSRC2:TRAP_HANDLER: 0
; COMPUTE_PGM_RSRC2:TGID_X_EN: 1
; COMPUTE_PGM_RSRC2:TGID_Y_EN: 0
; COMPUTE_PGM_RSRC2:TGID_Z_EN: 0
; COMPUTE_PGM_RSRC2:TIDIG_COMP_CNT: 0
	.type	__hip_cuid_21849e594b6fd2b8,@object ; @__hip_cuid_21849e594b6fd2b8
	.section	.bss,"aw",@nobits
	.globl	__hip_cuid_21849e594b6fd2b8
__hip_cuid_21849e594b6fd2b8:
	.byte	0                               ; 0x0
	.size	__hip_cuid_21849e594b6fd2b8, 1

	.ident	"AMD clang version 19.0.0git (https://github.com/RadeonOpenCompute/llvm-project roc-6.4.0 25133 c7fe45cf4b819c5991fe208aaa96edf142730f1d)"
	.section	".note.GNU-stack","",@progbits
	.addrsig
	.addrsig_sym __hip_cuid_21849e594b6fd2b8
	.amdgpu_metadata
---
amdhsa.kernels:
  - .args:
      - .actual_access:  read_only
        .address_space:  global
        .offset:         0
        .size:           8
        .value_kind:     global_buffer
      - .offset:         8
        .size:           8
        .value_kind:     by_value
      - .actual_access:  read_only
        .address_space:  global
        .offset:         16
        .size:           8
        .value_kind:     global_buffer
      - .actual_access:  read_only
        .address_space:  global
        .offset:         24
        .size:           8
        .value_kind:     global_buffer
      - .offset:         32
        .size:           8
        .value_kind:     by_value
      - .actual_access:  read_only
        .address_space:  global
        .offset:         40
        .size:           8
        .value_kind:     global_buffer
      - .actual_access:  read_only
        .address_space:  global
        .offset:         48
        .size:           8
        .value_kind:     global_buffer
      - .offset:         56
        .size:           4
        .value_kind:     by_value
      - .actual_access:  read_only
        .address_space:  global
        .offset:         64
        .size:           8
        .value_kind:     global_buffer
      - .actual_access:  read_only
        .address_space:  global
        .offset:         72
        .size:           8
        .value_kind:     global_buffer
      - .address_space:  global
        .offset:         80
        .size:           8
        .value_kind:     global_buffer
    .group_segment_fixed_size: 0
    .kernarg_segment_align: 8
    .kernarg_segment_size: 88
    .language:       OpenCL C
    .language_version:
      - 2
      - 0
    .max_flat_workgroup_size: 52
    .name:           fft_rtc_back_len1352_factors_2_13_13_4_wgs_52_tpt_52_halfLds_half_ip_CI_unitstride_sbrr_R2C_dirReg
    .private_segment_fixed_size: 0
    .sgpr_count:     30
    .sgpr_spill_count: 0
    .symbol:         fft_rtc_back_len1352_factors_2_13_13_4_wgs_52_tpt_52_halfLds_half_ip_CI_unitstride_sbrr_R2C_dirReg.kd
    .uniform_work_group_size: 1
    .uses_dynamic_stack: false
    .vgpr_count:     120
    .vgpr_spill_count: 0
    .wavefront_size: 64
amdhsa.target:   amdgcn-amd-amdhsa--gfx906
amdhsa.version:
  - 1
  - 2
...

	.end_amdgpu_metadata
